;; amdgpu-corpus repo=ROCm/rocFFT kind=compiled arch=gfx906 opt=O3
	.text
	.amdgcn_target "amdgcn-amd-amdhsa--gfx906"
	.amdhsa_code_object_version 6
	.protected	fft_rtc_back_len936_factors_2_2_13_2_3_3_wgs_234_tpt_78_halfLds_dp_op_CI_CI_unitstride_sbrr_R2C_dirReg ; -- Begin function fft_rtc_back_len936_factors_2_2_13_2_3_3_wgs_234_tpt_78_halfLds_dp_op_CI_CI_unitstride_sbrr_R2C_dirReg
	.globl	fft_rtc_back_len936_factors_2_2_13_2_3_3_wgs_234_tpt_78_halfLds_dp_op_CI_CI_unitstride_sbrr_R2C_dirReg
	.p2align	8
	.type	fft_rtc_back_len936_factors_2_2_13_2_3_3_wgs_234_tpt_78_halfLds_dp_op_CI_CI_unitstride_sbrr_R2C_dirReg,@function
fft_rtc_back_len936_factors_2_2_13_2_3_3_wgs_234_tpt_78_halfLds_dp_op_CI_CI_unitstride_sbrr_R2C_dirReg: ; @fft_rtc_back_len936_factors_2_2_13_2_3_3_wgs_234_tpt_78_halfLds_dp_op_CI_CI_unitstride_sbrr_R2C_dirReg
; %bb.0:
	s_load_dwordx4 s[8:11], s[4:5], 0x58
	s_load_dwordx4 s[12:15], s[4:5], 0x0
	;; [unrolled: 1-line block ×3, first 2 shown]
	v_mul_u32_u24_e32 v1, 0x349, v0
	v_lshrrev_b32_e32 v1, 16, v1
	v_mad_u64_u32 v[3:4], s[0:1], s6, 3, v[1:2]
	v_mov_b32_e32 v5, 0
	v_mov_b32_e32 v1, 0
	;; [unrolled: 1-line block ×3, first 2 shown]
	s_waitcnt lgkmcnt(0)
	v_cmp_lt_u64_e64 s[0:1], s[14:15], 2
	v_mov_b32_e32 v2, 0
	v_mov_b32_e32 v53, v2
	;; [unrolled: 1-line block ×3, first 2 shown]
	s_and_b64 vcc, exec, s[0:1]
	v_mov_b32_e32 v52, v1
	v_mov_b32_e32 v56, v3
	s_cbranch_vccnz .LBB0_8
; %bb.1:
	s_load_dwordx2 s[0:1], s[4:5], 0x10
	s_add_u32 s2, s18, 8
	s_addc_u32 s3, s19, 0
	s_add_u32 s6, s16, 8
	v_mov_b32_e32 v1, 0
	s_addc_u32 s7, s17, 0
	v_mov_b32_e32 v2, 0
	s_waitcnt lgkmcnt(0)
	s_add_u32 s20, s0, 8
	v_mov_b32_e32 v53, v2
	v_mov_b32_e32 v8, v4
	s_addc_u32 s21, s1, 0
	s_mov_b64 s[22:23], 1
	v_mov_b32_e32 v52, v1
	v_mov_b32_e32 v7, v3
.LBB0_2:                                ; =>This Inner Loop Header: Depth=1
	s_load_dwordx2 s[24:25], s[20:21], 0x0
                                        ; implicit-def: $vgpr56_vgpr57
	s_waitcnt lgkmcnt(0)
	v_or_b32_e32 v6, s25, v8
	v_cmp_ne_u64_e32 vcc, 0, v[5:6]
	s_and_saveexec_b64 s[0:1], vcc
	s_xor_b64 s[26:27], exec, s[0:1]
	s_cbranch_execz .LBB0_4
; %bb.3:                                ;   in Loop: Header=BB0_2 Depth=1
	v_cvt_f32_u32_e32 v4, s24
	v_cvt_f32_u32_e32 v6, s25
	s_sub_u32 s0, 0, s24
	s_subb_u32 s1, 0, s25
	v_mac_f32_e32 v4, 0x4f800000, v6
	v_rcp_f32_e32 v4, v4
	v_mul_f32_e32 v4, 0x5f7ffffc, v4
	v_mul_f32_e32 v6, 0x2f800000, v4
	v_trunc_f32_e32 v6, v6
	v_mac_f32_e32 v4, 0xcf800000, v6
	v_cvt_u32_f32_e32 v6, v6
	v_cvt_u32_f32_e32 v4, v4
	v_mul_lo_u32 v9, s0, v6
	v_mul_hi_u32 v10, s0, v4
	v_mul_lo_u32 v12, s1, v4
	v_mul_lo_u32 v11, s0, v4
	v_add_u32_e32 v9, v10, v9
	v_add_u32_e32 v9, v9, v12
	v_mul_hi_u32 v10, v4, v11
	v_mul_lo_u32 v12, v4, v9
	v_mul_hi_u32 v14, v4, v9
	v_mul_hi_u32 v13, v6, v11
	v_mul_lo_u32 v11, v6, v11
	v_mul_hi_u32 v15, v6, v9
	v_add_co_u32_e32 v10, vcc, v10, v12
	v_addc_co_u32_e32 v12, vcc, 0, v14, vcc
	v_mul_lo_u32 v9, v6, v9
	v_add_co_u32_e32 v10, vcc, v10, v11
	v_addc_co_u32_e32 v10, vcc, v12, v13, vcc
	v_addc_co_u32_e32 v11, vcc, 0, v15, vcc
	v_add_co_u32_e32 v9, vcc, v10, v9
	v_addc_co_u32_e32 v10, vcc, 0, v11, vcc
	v_add_co_u32_e32 v4, vcc, v4, v9
	v_addc_co_u32_e32 v6, vcc, v6, v10, vcc
	v_mul_lo_u32 v9, s0, v6
	v_mul_hi_u32 v10, s0, v4
	v_mul_lo_u32 v11, s1, v4
	v_mul_lo_u32 v12, s0, v4
	v_add_u32_e32 v9, v10, v9
	v_add_u32_e32 v9, v9, v11
	v_mul_lo_u32 v13, v4, v9
	v_mul_hi_u32 v14, v4, v12
	v_mul_hi_u32 v15, v4, v9
	;; [unrolled: 1-line block ×3, first 2 shown]
	v_mul_lo_u32 v12, v6, v12
	v_mul_hi_u32 v10, v6, v9
	v_add_co_u32_e32 v13, vcc, v14, v13
	v_addc_co_u32_e32 v14, vcc, 0, v15, vcc
	v_mul_lo_u32 v9, v6, v9
	v_add_co_u32_e32 v12, vcc, v13, v12
	v_addc_co_u32_e32 v11, vcc, v14, v11, vcc
	v_addc_co_u32_e32 v10, vcc, 0, v10, vcc
	v_add_co_u32_e32 v9, vcc, v11, v9
	v_addc_co_u32_e32 v10, vcc, 0, v10, vcc
	v_add_co_u32_e32 v4, vcc, v4, v9
	v_addc_co_u32_e32 v6, vcc, v6, v10, vcc
	v_mad_u64_u32 v[9:10], s[0:1], v7, v6, 0
	v_mul_hi_u32 v11, v7, v4
	v_add_co_u32_e32 v13, vcc, v11, v9
	v_addc_co_u32_e32 v14, vcc, 0, v10, vcc
	v_mad_u64_u32 v[9:10], s[0:1], v8, v4, 0
	v_mad_u64_u32 v[11:12], s[0:1], v8, v6, 0
	v_add_co_u32_e32 v4, vcc, v13, v9
	v_addc_co_u32_e32 v4, vcc, v14, v10, vcc
	v_addc_co_u32_e32 v6, vcc, 0, v12, vcc
	v_add_co_u32_e32 v4, vcc, v4, v11
	v_addc_co_u32_e32 v6, vcc, 0, v6, vcc
	v_mul_lo_u32 v11, s25, v4
	v_mul_lo_u32 v12, s24, v6
	v_mad_u64_u32 v[9:10], s[0:1], s24, v4, 0
	v_add3_u32 v10, v10, v12, v11
	v_sub_u32_e32 v11, v8, v10
	v_mov_b32_e32 v12, s25
	v_sub_co_u32_e32 v9, vcc, v7, v9
	v_subb_co_u32_e64 v11, s[0:1], v11, v12, vcc
	v_subrev_co_u32_e64 v12, s[0:1], s24, v9
	v_subbrev_co_u32_e64 v11, s[0:1], 0, v11, s[0:1]
	v_cmp_le_u32_e64 s[0:1], s25, v11
	v_cndmask_b32_e64 v13, 0, -1, s[0:1]
	v_cmp_le_u32_e64 s[0:1], s24, v12
	v_cndmask_b32_e64 v12, 0, -1, s[0:1]
	v_cmp_eq_u32_e64 s[0:1], s25, v11
	v_cndmask_b32_e64 v11, v13, v12, s[0:1]
	v_add_co_u32_e64 v12, s[0:1], 2, v4
	v_addc_co_u32_e64 v13, s[0:1], 0, v6, s[0:1]
	v_add_co_u32_e64 v14, s[0:1], 1, v4
	v_addc_co_u32_e64 v15, s[0:1], 0, v6, s[0:1]
	v_subb_co_u32_e32 v10, vcc, v8, v10, vcc
	v_cmp_ne_u32_e64 s[0:1], 0, v11
	v_cmp_le_u32_e32 vcc, s25, v10
	v_cndmask_b32_e64 v11, v15, v13, s[0:1]
	v_cndmask_b32_e64 v13, 0, -1, vcc
	v_cmp_le_u32_e32 vcc, s24, v9
	v_cndmask_b32_e64 v9, 0, -1, vcc
	v_cmp_eq_u32_e32 vcc, s25, v10
	v_cndmask_b32_e32 v9, v13, v9, vcc
	v_cmp_ne_u32_e32 vcc, 0, v9
	v_cndmask_b32_e32 v57, v6, v11, vcc
	v_cndmask_b32_e64 v6, v14, v12, s[0:1]
	v_cndmask_b32_e32 v56, v4, v6, vcc
.LBB0_4:                                ;   in Loop: Header=BB0_2 Depth=1
	s_andn2_saveexec_b64 s[0:1], s[26:27]
	s_cbranch_execz .LBB0_6
; %bb.5:                                ;   in Loop: Header=BB0_2 Depth=1
	v_cvt_f32_u32_e32 v4, s24
	s_sub_i32 s26, 0, s24
	v_mov_b32_e32 v57, v5
	v_rcp_iflag_f32_e32 v4, v4
	v_mul_f32_e32 v4, 0x4f7ffffe, v4
	v_cvt_u32_f32_e32 v4, v4
	v_mul_lo_u32 v6, s26, v4
	v_mul_hi_u32 v6, v4, v6
	v_add_u32_e32 v4, v4, v6
	v_mul_hi_u32 v4, v7, v4
	v_mul_lo_u32 v6, v4, s24
	v_add_u32_e32 v9, 1, v4
	v_sub_u32_e32 v6, v7, v6
	v_subrev_u32_e32 v10, s24, v6
	v_cmp_le_u32_e32 vcc, s24, v6
	v_cndmask_b32_e32 v6, v6, v10, vcc
	v_cndmask_b32_e32 v4, v4, v9, vcc
	v_add_u32_e32 v9, 1, v4
	v_cmp_le_u32_e32 vcc, s24, v6
	v_cndmask_b32_e32 v56, v4, v9, vcc
.LBB0_6:                                ;   in Loop: Header=BB0_2 Depth=1
	s_or_b64 exec, exec, s[0:1]
	v_mul_lo_u32 v4, v57, s24
	v_mul_lo_u32 v6, v56, s25
	v_mad_u64_u32 v[9:10], s[0:1], v56, s24, 0
	s_load_dwordx2 s[0:1], s[6:7], 0x0
	s_load_dwordx2 s[24:25], s[2:3], 0x0
	v_add3_u32 v4, v10, v6, v4
	v_sub_co_u32_e32 v6, vcc, v7, v9
	v_subb_co_u32_e32 v4, vcc, v8, v4, vcc
	s_waitcnt lgkmcnt(0)
	v_mul_lo_u32 v7, s0, v4
	v_mul_lo_u32 v8, s1, v6
	v_mad_u64_u32 v[1:2], s[0:1], s0, v6, v[1:2]
	s_add_u32 s22, s22, 1
	s_addc_u32 s23, s23, 0
	s_add_u32 s2, s2, 8
	v_mul_lo_u32 v4, s24, v4
	v_mul_lo_u32 v9, s25, v6
	v_mad_u64_u32 v[52:53], s[0:1], s24, v6, v[52:53]
	v_add3_u32 v2, v8, v2, v7
	s_addc_u32 s3, s3, 0
	v_mov_b32_e32 v6, s14
	s_add_u32 s6, s6, 8
	v_mov_b32_e32 v7, s15
	s_addc_u32 s7, s7, 0
	v_cmp_ge_u64_e32 vcc, s[22:23], v[6:7]
	s_add_u32 s20, s20, 8
	v_add3_u32 v53, v9, v53, v4
	s_addc_u32 s21, s21, 0
	s_cbranch_vccnz .LBB0_8
; %bb.7:                                ;   in Loop: Header=BB0_2 Depth=1
	v_mov_b32_e32 v7, v56
	v_mov_b32_e32 v8, v57
	s_branch .LBB0_2
.LBB0_8:
	s_mov_b32 s0, 0xaaaaaaab
	s_load_dwordx2 s[4:5], s[4:5], 0x28
	v_mul_hi_u32 v4, v3, s0
	s_lshl_b64 s[6:7], s[14:15], 3
	s_add_u32 s2, s18, s6
	s_addc_u32 s3, s19, s7
	v_lshrrev_b32_e32 v4, 1, v4
	v_lshl_add_u32 v4, v4, 1, v4
	s_waitcnt lgkmcnt(0)
	v_cmp_gt_u64_e64 s[0:1], s[4:5], v[56:57]
	v_cmp_le_u64_e32 vcc, s[4:5], v[56:57]
	v_sub_u32_e32 v3, v3, v4
                                        ; implicit-def: $vgpr54
                                        ; implicit-def: $vgpr58
                                        ; implicit-def: $vgpr66
                                        ; implicit-def: $vgpr64
                                        ; implicit-def: $vgpr62
                                        ; implicit-def: $vgpr60
	s_and_saveexec_b64 s[4:5], vcc
	s_xor_b64 s[4:5], exec, s[4:5]
; %bb.9:
	s_mov_b32 s14, 0x3483484
	v_mul_hi_u32 v1, v0, s14
	v_mul_u32_u24_e32 v1, 0x4e, v1
	v_sub_u32_e32 v54, v0, v1
	v_add_u32_e32 v58, 0x4e, v54
	v_add_u32_e32 v66, 0x9c, v54
	;; [unrolled: 1-line block ×5, first 2 shown]
                                        ; implicit-def: $vgpr0
                                        ; implicit-def: $vgpr1_vgpr2
; %bb.10:
	s_or_saveexec_b64 s[4:5], s[4:5]
	v_mul_u32_u24_e32 v3, 0x3a9, v3
	v_lshlrev_b32_e32 v63, 4, v3
	s_xor_b64 exec, exec, s[4:5]
	s_cbranch_execz .LBB0_12
; %bb.11:
	s_add_u32 s6, s16, s6
	s_addc_u32 s7, s17, s7
	s_load_dwordx2 s[6:7], s[6:7], 0x0
	s_mov_b32 s14, 0x3483484
	v_mul_hi_u32 v5, v0, s14
	s_waitcnt lgkmcnt(0)
	v_mul_lo_u32 v6, s7, v56
	v_mul_lo_u32 v7, s6, v57
	v_mad_u64_u32 v[3:4], s[6:7], s6, v56, 0
	v_mul_u32_u24_e32 v5, 0x4e, v5
	v_sub_u32_e32 v54, v0, v5
	v_add3_u32 v4, v4, v7, v6
	v_lshlrev_b64 v[3:4], 4, v[3:4]
	v_mov_b32_e32 v0, s9
	v_add_co_u32_e32 v3, vcc, s8, v3
	v_addc_co_u32_e32 v4, vcc, v0, v4, vcc
	v_lshlrev_b64 v[0:1], 4, v[1:2]
	v_lshlrev_b32_e32 v55, 4, v54
	v_add_co_u32_e32 v0, vcc, v3, v0
	v_addc_co_u32_e32 v1, vcc, v4, v1, vcc
	v_add_co_u32_e32 v32, vcc, v0, v55
	v_addc_co_u32_e32 v33, vcc, 0, v1, vcc
	s_movk_i32 s6, 0x1000
	v_add_co_u32_e32 v34, vcc, s6, v32
	v_addc_co_u32_e32 v35, vcc, 0, v33, vcc
	s_movk_i32 s6, 0x2000
	v_add_co_u32_e32 v48, vcc, s6, v32
	v_addc_co_u32_e32 v49, vcc, 0, v33, vcc
	v_add_co_u32_e32 v50, vcc, 0x3000, v32
	global_load_dwordx4 v[0:3], v[32:33], off
	global_load_dwordx4 v[4:7], v[32:33], off offset:1248
	global_load_dwordx4 v[8:11], v[32:33], off offset:2496
	;; [unrolled: 1-line block ×7, first 2 shown]
	v_addc_co_u32_e32 v51, vcc, 0, v33, vcc
	global_load_dwordx4 v[32:35], v[48:49], off offset:1792
	global_load_dwordx4 v[36:39], v[48:49], off offset:3040
	;; [unrolled: 1-line block ×4, first 2 shown]
	v_add_u32_e32 v58, 0x4e, v54
	v_add_u32_e32 v66, 0x9c, v54
	;; [unrolled: 1-line block ×5, first 2 shown]
	v_add3_u32 v48, 0, v63, v55
	s_waitcnt vmcnt(11)
	ds_write_b128 v48, v[0:3]
	s_waitcnt vmcnt(10)
	ds_write_b128 v48, v[4:7] offset:1248
	s_waitcnt vmcnt(9)
	ds_write_b128 v48, v[8:11] offset:2496
	s_waitcnt vmcnt(8)
	ds_write_b128 v48, v[12:15] offset:3744
	s_waitcnt vmcnt(7)
	ds_write_b128 v48, v[16:19] offset:4992
	s_waitcnt vmcnt(6)
	ds_write_b128 v48, v[20:23] offset:6240
	s_waitcnt vmcnt(5)
	ds_write_b128 v48, v[24:27] offset:7488
	s_waitcnt vmcnt(4)
	ds_write_b128 v48, v[28:31] offset:8736
	s_waitcnt vmcnt(3)
	ds_write_b128 v48, v[32:35] offset:9984
	s_waitcnt vmcnt(2)
	ds_write_b128 v48, v[36:39] offset:11232
	s_waitcnt vmcnt(1)
	ds_write_b128 v48, v[40:43] offset:12480
	s_waitcnt vmcnt(0)
	ds_write_b128 v48, v[44:47] offset:13728
.LBB0_12:
	s_or_b64 exec, exec, s[4:5]
	v_lshlrev_b32_e32 v55, 4, v54
	v_add_u32_e32 v139, 0, v63
	v_add3_u32 v59, 0, v55, v63
	s_load_dwordx2 s[2:3], s[2:3], 0x0
	s_waitcnt lgkmcnt(0)
	s_barrier
	v_add_u32_e32 v61, v139, v55
	ds_read_b128 v[0:3], v59 offset:7488
	ds_read_b128 v[4:7], v61
	ds_read_b128 v[8:11], v59 offset:1248
	ds_read_b128 v[12:15], v59 offset:8736
	;; [unrolled: 1-line block ×10, first 2 shown]
	v_add_u32_e32 v48, v59, v55
	s_waitcnt lgkmcnt(10)
	v_add_f64 v[0:1], v[4:5], -v[0:1]
	v_add_f64 v[2:3], v[6:7], -v[2:3]
	s_waitcnt lgkmcnt(8)
	v_add_f64 v[12:13], v[8:9], -v[12:13]
	v_add_f64 v[14:15], v[10:11], -v[14:15]
	s_waitcnt lgkmcnt(0)
	s_barrier
	v_and_b32_e32 v89, 1, v54
	v_fma_f64 v[4:5], v[4:5], 2.0, -v[0:1]
	v_fma_f64 v[6:7], v[6:7], 2.0, -v[2:3]
	ds_write_b128 v48, v[4:7]
	ds_write_b128 v48, v[0:3] offset:16
	v_add_f64 v[4:5], v[16:17], -v[24:25]
	v_add_f64 v[6:7], v[18:19], -v[26:27]
	v_fma_f64 v[0:1], v[8:9], 2.0, -v[12:13]
	v_fma_f64 v[2:3], v[10:11], 2.0, -v[14:15]
	v_add_f64 v[8:9], v[20:21], -v[28:29]
	v_add_f64 v[10:11], v[22:23], -v[30:31]
	;; [unrolled: 1-line block ×6, first 2 shown]
	v_fma_f64 v[16:17], v[16:17], 2.0, -v[4:5]
	v_fma_f64 v[18:19], v[18:19], 2.0, -v[6:7]
	;; [unrolled: 1-line block ×8, first 2 shown]
	v_lshl_add_u32 v40, v58, 5, v139
	ds_write_b128 v40, v[0:3]
	ds_write_b128 v40, v[12:15] offset:16
	v_lshl_add_u32 v12, v66, 5, v139
	ds_write_b128 v12, v[16:19]
	ds_write_b128 v12, v[4:7] offset:16
	v_lshl_add_u32 v4, v64, 5, v139
	v_lshl_add_u32 v5, v62, 5, v139
	;; [unrolled: 1-line block ×3, first 2 shown]
	v_lshlrev_b32_e32 v0, 4, v89
	ds_write_b128 v4, v[20:23]
	ds_write_b128 v4, v[8:11] offset:16
	ds_write_b128 v5, v[32:35]
	ds_write_b128 v5, v[24:27] offset:16
	ds_write_b128 v6, v[36:39]
	ds_write_b128 v6, v[28:31] offset:16
	s_waitcnt lgkmcnt(0)
	s_barrier
	global_load_dwordx4 v[0:3], v0, s[12:13]
	v_lshlrev_b32_e32 v7, 4, v58
	v_lshlrev_b32_e32 v8, 4, v66
	;; [unrolled: 1-line block ×5, first 2 shown]
	v_sub_u32_e32 v141, v40, v7
	v_sub_u32_e32 v140, v12, v8
	;; [unrolled: 1-line block ×5, first 2 shown]
	ds_read_b128 v[4:7], v59 offset:8736
	ds_read_b128 v[8:11], v59 offset:9984
	;; [unrolled: 1-line block ×5, first 2 shown]
	ds_read_b128 v[26:29], v61
	ds_read_b128 v[30:33], v59 offset:13728
	ds_read_b128 v[34:37], v141
	ds_read_b128 v[40:43], v140
	;; [unrolled: 1-line block ×5, first 2 shown]
	s_movk_i32 s4, 0xfc
	s_waitcnt vmcnt(0) lgkmcnt(0)
	s_barrier
	v_mul_f64 v[24:25], v[22:23], v[2:3]
	v_mul_f64 v[38:39], v[20:21], v[2:3]
	;; [unrolled: 1-line block ×9, first 2 shown]
	v_fma_f64 v[20:21], v[20:21], v[0:1], v[24:25]
	v_fma_f64 v[22:23], v[22:23], v[0:1], -v[38:39]
	v_mul_f64 v[83:84], v[18:19], v[2:3]
	v_fma_f64 v[38:39], v[6:7], v[0:1], -v[46:47]
	v_fma_f64 v[24:25], v[4:5], v[0:1], v[44:45]
	v_mul_f64 v[87:88], v[32:33], v[2:3]
	v_mul_f64 v[2:3], v[30:31], v[2:3]
	v_fma_f64 v[44:45], v[8:9], v[0:1], v[75:76]
	v_fma_f64 v[46:47], v[10:11], v[0:1], -v[77:78]
	v_fma_f64 v[12:13], v[12:13], v[0:1], v[79:80]
	v_fma_f64 v[79:80], v[18:19], v[0:1], -v[85:86]
	v_fma_f64 v[75:76], v[14:15], v[0:1], -v[81:82]
	v_add_f64 v[4:5], v[26:27], -v[20:21]
	v_add_f64 v[6:7], v[28:29], -v[22:23]
	v_fma_f64 v[77:78], v[16:17], v[0:1], v[83:84]
	v_add_f64 v[10:11], v[36:37], -v[38:39]
	v_add_f64 v[8:9], v[34:35], -v[24:25]
	v_fma_f64 v[30:31], v[30:31], v[0:1], v[87:88]
	v_fma_f64 v[20:21], v[32:33], v[0:1], -v[2:3]
	v_add_f64 v[16:17], v[40:41], -v[44:45]
	v_add_f64 v[18:19], v[42:43], -v[46:47]
	;; [unrolled: 1-line block ×4, first 2 shown]
	v_fma_f64 v[0:1], v[26:27], 2.0, -v[4:5]
	v_add_f64 v[26:27], v[50:51], -v[75:76]
	v_fma_f64 v[2:3], v[28:29], 2.0, -v[6:7]
	v_fma_f64 v[14:15], v[36:37], 2.0, -v[10:11]
	v_add_f64 v[36:37], v[67:68], -v[77:78]
	v_fma_f64 v[12:13], v[34:35], 2.0, -v[8:9]
	v_add_f64 v[44:45], v[71:72], -v[30:31]
	v_add_f64 v[46:47], v[73:74], -v[20:21]
	v_fma_f64 v[20:21], v[40:41], 2.0, -v[16:17]
	v_fma_f64 v[22:23], v[42:43], 2.0, -v[18:19]
	;; [unrolled: 1-line block ×3, first 2 shown]
	v_lshlrev_b32_e32 v70, 1, v54
	v_fma_f64 v[28:29], v[48:49], 2.0, -v[24:25]
	v_fma_f64 v[30:31], v[50:51], 2.0, -v[26:27]
	v_and_or_b32 v48, v70, s4, v89
	v_lshl_add_u32 v48, v48, 4, v139
	s_movk_i32 s4, 0x1fc
	v_lshlrev_b32_e32 v69, 1, v58
	ds_write_b128 v48, v[0:3]
	ds_write_b128 v48, v[4:7] offset:32
	v_and_or_b32 v48, v69, s4, v89
	v_fma_f64 v[32:33], v[67:68], 2.0, -v[36:37]
	v_lshl_add_u32 v48, v48, 4, v139
	s_movk_i32 s4, 0x3fc
	v_lshlrev_b32_e32 v68, 1, v66
	ds_write_b128 v48, v[12:15]
	ds_write_b128 v48, v[8:11] offset:32
	v_and_or_b32 v48, v68, s4, v89
	v_lshl_add_u32 v48, v48, 4, v139
	v_lshlrev_b32_e32 v67, 1, v64
	v_fma_f64 v[40:41], v[71:72], 2.0, -v[44:45]
	v_fma_f64 v[42:43], v[73:74], 2.0, -v[46:47]
	ds_write_b128 v48, v[20:23]
	ds_write_b128 v48, v[16:19] offset:32
	v_and_or_b32 v48, v67, s4, v89
	v_lshl_add_u32 v48, v48, 4, v139
	ds_write_b128 v48, v[28:31]
	ds_write_b128 v48, v[24:27] offset:32
	v_lshlrev_b32_e32 v48, 1, v62
	v_and_or_b32 v48, v48, s4, v89
	v_lshl_add_u32 v48, v48, 4, v139
	ds_write_b128 v48, v[32:35]
	ds_write_b128 v48, v[36:39] offset:32
	s_movk_i32 s4, 0x7fc
	v_lshlrev_b32_e32 v48, 1, v60
	v_and_or_b32 v48, v48, s4, v89
	s_movk_i32 s4, 0x48
	v_lshl_add_u32 v48, v48, 4, v139
	v_cmp_gt_u32_e32 vcc, s4, v54
	ds_write_b128 v48, v[40:43]
	ds_write_b128 v48, v[44:47] offset:32
	s_waitcnt lgkmcnt(0)
	s_barrier
	s_waitcnt lgkmcnt(0)
                                        ; implicit-def: $vgpr50_vgpr51
	s_and_saveexec_b64 s[4:5], vcc
	s_cbranch_execz .LBB0_14
; %bb.13:
	ds_read_b128 v[0:3], v61
	ds_read_b128 v[4:7], v59 offset:1152
	ds_read_b128 v[12:15], v59 offset:2304
	;; [unrolled: 1-line block ×12, first 2 shown]
.LBB0_14:
	s_or_b64 exec, exec, s[4:5]
	s_waitcnt lgkmcnt(0)
	s_barrier
	s_and_saveexec_b64 s[4:5], vcc
	s_cbranch_execz .LBB0_16
; %bb.15:
	v_and_b32_e32 v144, 3, v54
	v_mul_u32_u24_e32 v71, 12, v144
	v_lshlrev_b32_e32 v75, 4, v71
	global_load_dwordx4 v[71:74], v75, s[12:13] offset:112
	global_load_dwordx4 v[77:80], v75, s[12:13] offset:128
	;; [unrolled: 1-line block ×12, first 2 shown]
	s_mov_b32 s8, 0x4bc48dbf
	s_mov_b32 s9, 0xbfcea1e5
	;; [unrolled: 1-line block ×32, first 2 shown]
	s_waitcnt vmcnt(11)
	v_mul_f64 v[75:76], v[30:31], v[73:74]
	s_waitcnt vmcnt(10)
	v_mul_f64 v[87:88], v[26:27], v[79:80]
	v_mul_f64 v[93:94], v[24:25], v[79:80]
	;; [unrolled: 1-line block ×3, first 2 shown]
	s_waitcnt vmcnt(9)
	v_mul_f64 v[99:100], v[18:19], v[85:86]
	s_waitcnt vmcnt(6)
	v_mul_f64 v[119:120], v[38:39], v[105:106]
	v_mul_f64 v[105:106], v[36:37], v[105:106]
	s_waitcnt vmcnt(4)
	v_mul_f64 v[127:128], v[6:7], v[113:114]
	;; [unrolled: 3-line block ×3, first 2 shown]
	v_mul_f64 v[117:118], v[48:49], v[117:118]
	v_mul_f64 v[121:122], v[14:15], v[109:110]
	;; [unrolled: 1-line block ×3, first 2 shown]
	s_waitcnt vmcnt(2)
	v_mul_f64 v[147:148], v[46:47], v[125:126]
	v_mul_f64 v[125:126], v[44:45], v[125:126]
	s_waitcnt vmcnt(0)
	v_mul_f64 v[151:152], v[42:43], v[137:138]
	v_mul_f64 v[137:138], v[40:41], v[137:138]
	v_fma_f64 v[79:80], v[28:29], v[71:72], v[75:76]
	v_fma_f64 v[75:76], v[24:25], v[77:78], v[87:88]
	v_fma_f64 v[77:78], v[26:27], v[77:78], -v[93:94]
	v_fma_f64 v[127:128], v[4:5], v[111:112], v[127:128]
	v_fma_f64 v[24:25], v[48:49], v[115:116], v[129:130]
	v_fma_f64 v[129:130], v[6:7], v[111:112], -v[113:114]
	v_fma_f64 v[26:27], v[50:51], v[115:116], -v[117:118]
	v_mul_f64 v[149:150], v[10:11], v[133:134]
	v_mul_f64 v[133:134], v[8:9], v[133:134]
	v_fma_f64 v[81:82], v[30:31], v[71:72], -v[73:74]
	v_fma_f64 v[71:72], v[36:37], v[103:104], v[119:120]
	v_fma_f64 v[73:74], v[38:39], v[103:104], -v[105:106]
	v_fma_f64 v[119:120], v[12:13], v[107:108], v[121:122]
	;; [unrolled: 2-line block ×4, first 2 shown]
	v_fma_f64 v[38:39], v[42:43], v[135:136], -v[137:138]
	v_add_f64 v[137:138], v[127:128], -v[24:25]
	v_add_f64 v[135:136], v[129:130], -v[26:27]
	v_mul_f64 v[145:146], v[34:35], v[91:92]
	v_mul_f64 v[91:92], v[32:33], v[91:92]
	;; [unrolled: 1-line block ×4, first 2 shown]
	v_fma_f64 v[115:116], v[8:9], v[131:132], v[149:150]
	v_fma_f64 v[117:118], v[10:11], v[131:132], -v[133:134]
	v_add_f64 v[125:126], v[119:120], -v[28:29]
	v_add_f64 v[133:134], v[129:130], v[26:27]
	v_add_f64 v[131:132], v[127:128], v[24:25]
	v_add_f64 v[111:112], v[121:122], -v[30:31]
	v_mul_f64 v[4:5], v[137:138], s[8:9]
	v_mul_f64 v[6:7], v[135:136], s[8:9]
	;; [unrolled: 1-line block ×3, first 2 shown]
	v_fma_f64 v[87:88], v[16:17], v[83:84], v[99:100]
	v_fma_f64 v[99:100], v[20:21], v[95:96], v[101:102]
	v_fma_f64 v[101:102], v[22:23], v[95:96], -v[97:98]
	v_fma_f64 v[40:41], v[32:33], v[89:90], v[145:146]
	v_fma_f64 v[42:43], v[34:35], v[89:90], -v[91:92]
	v_add_f64 v[105:106], v[121:122], v[30:31]
	v_add_f64 v[89:90], v[119:120], v[28:29]
	v_add_f64 v[123:124], v[115:116], -v[36:37]
	v_add_f64 v[109:110], v[117:118], -v[38:39]
	v_mul_f64 v[8:9], v[125:126], s[22:23]
	v_mul_f64 v[10:11], v[111:112], s[22:23]
	v_fma_f64 v[12:13], v[133:134], s[6:7], v[4:5]
	v_fma_f64 v[20:21], v[131:132], s[6:7], -v[6:7]
	v_fma_f64 v[93:94], v[18:19], v[83:84], -v[85:86]
	v_add_f64 v[97:98], v[117:118], v[38:39]
	v_add_f64 v[83:84], v[115:116], v[36:37]
	v_add_f64 v[113:114], v[99:100], -v[71:72]
	v_add_f64 v[103:104], v[101:102], -v[73:74]
	v_mul_f64 v[14:15], v[123:124], s[18:19]
	v_mul_f64 v[16:17], v[109:110], s[18:19]
	v_fma_f64 v[147:148], v[105:106], s[14:15], v[8:9]
	v_add_f64 v[12:13], v[2:3], v[12:13]
	v_fma_f64 v[153:154], v[89:90], s[14:15], -v[10:11]
	v_add_f64 v[20:21], v[0:1], v[20:21]
	v_add_f64 v[95:96], v[101:102], v[73:74]
	;; [unrolled: 1-line block ×3, first 2 shown]
	v_add_f64 v[107:108], v[87:88], -v[40:41]
	v_add_f64 v[48:49], v[93:94], -v[42:43]
	v_mul_f64 v[18:19], v[113:114], s[38:39]
	v_mul_f64 v[22:23], v[103:104], s[38:39]
	v_fma_f64 v[159:160], v[97:98], s[16:17], v[14:15]
	v_add_f64 v[12:13], v[147:148], v[12:13]
	v_fma_f64 v[163:164], v[83:84], s[16:17], -v[16:17]
	v_add_f64 v[20:21], v[153:154], v[20:21]
	v_fma_f64 v[4:5], v[133:134], s[6:7], -v[4:5]
	v_add_f64 v[85:86], v[93:94], v[42:43]
	v_add_f64 v[32:33], v[87:88], v[40:41]
	v_add_f64 v[91:92], v[79:80], -v[75:76]
	v_add_f64 v[44:45], v[81:82], -v[77:78]
	v_mul_f64 v[145:146], v[107:108], s[28:29]
	v_mul_f64 v[149:150], v[48:49], s[28:29]
	v_fma_f64 v[153:154], v[95:96], s[20:21], v[18:19]
	v_fma_f64 v[165:166], v[50:51], s[20:21], -v[22:23]
	v_add_f64 v[12:13], v[159:160], v[12:13]
	v_fma_f64 v[8:9], v[105:106], s[14:15], -v[8:9]
	v_add_f64 v[20:21], v[163:164], v[20:21]
	v_add_f64 v[4:5], v[2:3], v[4:5]
	;; [unrolled: 1-line block ×4, first 2 shown]
	v_mul_f64 v[151:152], v[91:92], s[34:35]
	v_mul_f64 v[155:156], v[44:45], s[34:35]
	;; [unrolled: 1-line block ×3, first 2 shown]
	v_fma_f64 v[159:160], v[85:86], s[24:25], v[145:146]
	v_fma_f64 v[167:168], v[32:33], s[24:25], -v[149:150]
	v_fma_f64 v[6:7], v[131:132], s[6:7], v[6:7]
	v_add_f64 v[12:13], v[153:154], v[12:13]
	v_fma_f64 v[14:15], v[97:98], s[16:17], -v[14:15]
	v_add_f64 v[20:21], v[165:166], v[20:21]
	v_add_f64 v[4:5], v[8:9], v[4:5]
	v_mul_f64 v[147:148], v[125:126], s[34:35]
	v_mul_f64 v[161:162], v[135:136], s[18:19]
	v_fma_f64 v[163:164], v[46:47], s[26:27], v[151:152]
	v_fma_f64 v[153:154], v[34:35], s[26:27], -v[155:156]
	v_fma_f64 v[10:11], v[89:90], s[14:15], v[10:11]
	v_add_f64 v[6:7], v[0:1], v[6:7]
	v_fma_f64 v[8:9], v[133:134], s[16:17], v[157:158]
	v_add_f64 v[12:13], v[159:160], v[12:13]
	v_fma_f64 v[18:19], v[95:96], s[20:21], -v[18:19]
	v_add_f64 v[20:21], v[167:168], v[20:21]
	v_add_f64 v[14:15], v[14:15], v[4:5]
	v_fma_f64 v[16:17], v[83:84], s[16:17], v[16:17]
	v_fma_f64 v[159:160], v[105:106], s[26:27], v[147:148]
	v_add_f64 v[10:11], v[10:11], v[6:7]
	v_add_f64 v[8:9], v[2:3], v[8:9]
	;; [unrolled: 1-line block ×3, first 2 shown]
	v_mul_f64 v[12:13], v[123:124], s[30:31]
	v_add_f64 v[4:5], v[153:154], v[20:21]
	v_add_f64 v[14:15], v[18:19], v[14:15]
	v_fma_f64 v[18:19], v[131:132], s[16:17], -v[161:162]
	v_mul_f64 v[20:21], v[111:112], s[34:35]
	v_add_f64 v[10:11], v[16:17], v[10:11]
	v_fma_f64 v[16:17], v[50:51], s[20:21], v[22:23]
	v_add_f64 v[8:9], v[159:160], v[8:9]
	v_fma_f64 v[22:23], v[97:98], s[20:21], v[12:13]
	v_mul_f64 v[153:154], v[113:114], s[42:43]
	v_mul_f64 v[163:164], v[109:110], s[30:31]
	v_add_f64 v[18:19], v[0:1], v[18:19]
	v_fma_f64 v[159:160], v[89:90], s[26:27], -v[20:21]
	v_fma_f64 v[145:146], v[85:86], s[24:25], -v[145:146]
	v_add_f64 v[10:11], v[16:17], v[10:11]
	v_fma_f64 v[16:17], v[32:33], s[24:25], v[149:150]
	v_add_f64 v[8:9], v[22:23], v[8:9]
	v_fma_f64 v[22:23], v[95:96], s[6:7], v[153:154]
	v_fma_f64 v[149:150], v[133:134], s[16:17], -v[157:158]
	v_mul_f64 v[157:158], v[107:108], s[22:23]
	v_add_f64 v[18:19], v[159:160], v[18:19]
	v_fma_f64 v[159:160], v[83:84], s[20:21], -v[163:164]
	v_mul_f64 v[165:166], v[103:104], s[42:43]
	v_add_f64 v[14:15], v[145:146], v[14:15]
	v_add_f64 v[16:17], v[16:17], v[10:11]
	v_fma_f64 v[10:11], v[105:106], s[26:27], -v[147:148]
	v_add_f64 v[145:146], v[2:3], v[149:150]
	v_add_f64 v[8:9], v[22:23], v[8:9]
	v_fma_f64 v[22:23], v[85:86], s[14:15], v[157:158]
	v_add_f64 v[18:19], v[159:160], v[18:19]
	v_mul_f64 v[159:160], v[91:92], s[28:29]
	v_fma_f64 v[147:148], v[50:51], s[6:7], -v[165:166]
	v_mul_f64 v[149:150], v[48:49], s[22:23]
	v_fma_f64 v[151:152], v[46:47], s[26:27], -v[151:152]
	v_add_f64 v[145:146], v[10:11], v[145:146]
	v_fma_f64 v[12:13], v[97:98], s[20:21], -v[12:13]
	v_add_f64 v[22:23], v[22:23], v[8:9]
	v_fma_f64 v[155:156], v[34:35], s[26:27], v[155:156]
	v_fma_f64 v[167:168], v[46:47], s[24:25], v[159:160]
	v_add_f64 v[18:19], v[147:148], v[18:19]
	v_fma_f64 v[147:148], v[32:33], s[14:15], -v[149:150]
	v_add_f64 v[10:11], v[151:152], v[14:15]
	v_mul_f64 v[151:152], v[44:45], s[28:29]
	v_add_f64 v[12:13], v[12:13], v[145:146]
	v_fma_f64 v[145:146], v[131:132], s[16:17], v[161:162]
	v_fma_f64 v[153:154], v[95:96], s[6:7], -v[153:154]
	v_add_f64 v[14:15], v[167:168], v[22:23]
	v_mul_f64 v[22:23], v[137:138], s[28:29]
	v_add_f64 v[8:9], v[155:156], v[16:17]
	v_add_f64 v[16:17], v[147:148], v[18:19]
	v_fma_f64 v[18:19], v[34:35], s[24:25], -v[151:152]
	v_fma_f64 v[20:21], v[89:90], s[26:27], v[20:21]
	v_add_f64 v[145:146], v[0:1], v[145:146]
	v_add_f64 v[147:148], v[153:154], v[12:13]
	v_mul_f64 v[153:154], v[135:136], s[28:29]
	v_fma_f64 v[155:156], v[133:134], s[24:25], v[22:23]
	v_mul_f64 v[161:162], v[125:126], s[40:41]
	v_fma_f64 v[157:158], v[85:86], s[14:15], -v[157:158]
	v_mul_f64 v[167:168], v[111:112], s[40:41]
	v_add_f64 v[12:13], v[18:19], v[16:17]
	v_add_f64 v[20:21], v[20:21], v[145:146]
	v_fma_f64 v[145:146], v[83:84], s[20:21], v[163:164]
	v_fma_f64 v[163:164], v[131:132], s[24:25], -v[153:154]
	v_add_f64 v[16:17], v[2:3], v[155:156]
	v_fma_f64 v[18:19], v[105:106], s[16:17], v[161:162]
	v_mul_f64 v[155:156], v[123:124], s[22:23]
	v_add_f64 v[147:148], v[157:158], v[147:148]
	v_fma_f64 v[157:158], v[89:90], s[16:17], -v[167:168]
	v_fma_f64 v[165:166], v[50:51], s[6:7], v[165:166]
	v_add_f64 v[20:21], v[145:146], v[20:21]
	v_add_f64 v[145:146], v[0:1], v[163:164]
	v_mul_f64 v[163:164], v[109:110], s[22:23]
	v_add_f64 v[16:17], v[18:19], v[16:17]
	v_fma_f64 v[18:19], v[97:98], s[14:15], v[155:156]
	v_mul_f64 v[169:170], v[113:114], s[36:37]
	v_mul_f64 v[171:172], v[103:104], s[36:37]
	v_fma_f64 v[149:150], v[32:33], s[14:15], v[149:150]
	v_add_f64 v[20:21], v[165:166], v[20:21]
	v_add_f64 v[145:146], v[157:158], v[145:146]
	v_fma_f64 v[157:158], v[83:84], s[14:15], -v[163:164]
	v_fma_f64 v[159:160], v[46:47], s[24:25], -v[159:160]
	v_add_f64 v[16:17], v[18:19], v[16:17]
	v_fma_f64 v[165:166], v[95:96], s[26:27], v[169:170]
	v_mul_f64 v[173:174], v[107:108], s[42:43]
	v_mul_f64 v[175:176], v[48:49], s[42:43]
	v_add_f64 v[20:21], v[149:150], v[20:21]
	v_fma_f64 v[149:150], v[34:35], s[24:25], v[151:152]
	v_add_f64 v[145:146], v[157:158], v[145:146]
	v_fma_f64 v[157:158], v[50:51], s[26:27], -v[171:172]
	v_add_f64 v[18:19], v[159:160], v[147:148]
	v_fma_f64 v[22:23], v[133:134], s[24:25], -v[22:23]
	v_add_f64 v[147:148], v[165:166], v[16:17]
	v_fma_f64 v[151:152], v[85:86], s[6:7], v[173:174]
	v_mul_f64 v[159:160], v[91:92], s[38:39]
	v_mul_f64 v[165:166], v[44:45], s[38:39]
	v_fma_f64 v[161:162], v[105:106], s[16:17], -v[161:162]
	v_add_f64 v[145:146], v[157:158], v[145:146]
	v_fma_f64 v[157:158], v[32:33], s[6:7], -v[175:176]
	v_add_f64 v[22:23], v[2:3], v[22:23]
	v_add_f64 v[16:17], v[149:150], v[20:21]
	;; [unrolled: 1-line block ×3, first 2 shown]
	v_fma_f64 v[147:148], v[131:132], s[24:25], v[153:154]
	v_fma_f64 v[149:150], v[46:47], s[20:21], v[159:160]
	v_fma_f64 v[151:152], v[34:35], s[20:21], -v[165:166]
	v_mul_f64 v[153:154], v[137:138], s[36:37]
	v_add_f64 v[145:146], v[157:158], v[145:146]
	v_add_f64 v[157:158], v[161:162], v[22:23]
	v_fma_f64 v[155:156], v[97:98], s[14:15], -v[155:156]
	v_fma_f64 v[161:162], v[89:90], s[16:17], v[167:168]
	v_add_f64 v[147:148], v[0:1], v[147:148]
	v_mul_f64 v[167:168], v[135:136], s[36:37]
	v_add_f64 v[22:23], v[149:150], v[20:21]
	v_mul_f64 v[149:150], v[125:126], s[8:9]
	v_add_f64 v[20:21], v[151:152], v[145:146]
	v_fma_f64 v[145:146], v[133:134], s[26:27], v[153:154]
	v_add_f64 v[151:152], v[155:156], v[157:158]
	s_mov_b32 s39, 0x3fedeba7
	v_add_f64 v[147:148], v[161:162], v[147:148]
	v_fma_f64 v[157:158], v[131:132], s[26:27], -v[167:168]
	v_mul_f64 v[161:162], v[111:112], s[8:9]
	s_mov_b32 s38, s28
	v_fma_f64 v[155:156], v[95:96], s[26:27], -v[169:170]
	v_fma_f64 v[163:164], v[83:84], s[14:15], v[163:164]
	v_add_f64 v[145:146], v[2:3], v[145:146]
	v_fma_f64 v[169:170], v[105:106], s[6:7], v[149:150]
	v_mul_f64 v[177:178], v[123:124], s[38:39]
	v_add_f64 v[157:158], v[0:1], v[157:158]
	v_fma_f64 v[179:180], v[89:90], s[6:7], -v[161:162]
	v_mul_f64 v[181:182], v[109:110], s[38:39]
	v_add_f64 v[151:152], v[155:156], v[151:152]
	v_add_f64 v[147:148], v[163:164], v[147:148]
	v_fma_f64 v[155:156], v[50:51], s[26:27], v[171:172]
	v_add_f64 v[145:146], v[169:170], v[145:146]
	v_fma_f64 v[163:164], v[97:98], s[24:25], v[177:178]
	v_mul_f64 v[169:170], v[113:114], s[22:23]
	v_add_f64 v[157:158], v[179:180], v[157:158]
	v_fma_f64 v[171:172], v[83:84], s[24:25], -v[181:182]
	v_mul_f64 v[179:180], v[103:104], s[22:23]
	v_fma_f64 v[173:174], v[85:86], s[6:7], -v[173:174]
	v_add_f64 v[147:148], v[155:156], v[147:148]
	v_fma_f64 v[155:156], v[32:33], s[6:7], v[175:176]
	v_add_f64 v[145:146], v[163:164], v[145:146]
	v_fma_f64 v[163:164], v[95:96], s[14:15], v[169:170]
	v_mul_f64 v[175:176], v[107:108], s[30:31]
	v_add_f64 v[157:158], v[171:172], v[157:158]
	v_fma_f64 v[171:172], v[50:51], s[14:15], -v[179:180]
	v_add_f64 v[151:152], v[173:174], v[151:152]
	v_mul_f64 v[173:174], v[48:49], s[30:31]
	v_add_f64 v[155:156], v[155:156], v[147:148]
	v_fma_f64 v[147:148], v[46:47], s[20:21], -v[159:160]
	v_fma_f64 v[153:154], v[133:134], s[26:27], -v[153:154]
	v_add_f64 v[145:146], v[163:164], v[145:146]
	v_fma_f64 v[159:160], v[85:86], s[20:21], v[175:176]
	v_add_f64 v[157:158], v[171:172], v[157:158]
	v_mul_f64 v[163:164], v[91:92], s[18:19]
	v_fma_f64 v[171:172], v[32:33], s[20:21], -v[173:174]
	v_mul_f64 v[183:184], v[44:45], s[18:19]
	v_fma_f64 v[149:150], v[105:106], s[6:7], -v[149:150]
	v_add_f64 v[153:154], v[2:3], v[153:154]
	v_fma_f64 v[165:166], v[34:35], s[20:21], v[165:166]
	v_add_f64 v[147:148], v[147:148], v[151:152]
	v_add_f64 v[151:152], v[159:160], v[145:146]
	v_fma_f64 v[159:160], v[46:47], s[16:17], v[163:164]
	v_add_f64 v[157:158], v[171:172], v[157:158]
	v_fma_f64 v[171:172], v[34:35], s[16:17], -v[183:184]
	v_mul_f64 v[185:186], v[137:138], s[30:31]
	v_mul_f64 v[187:188], v[135:136], s[30:31]
	v_add_f64 v[153:154], v[149:150], v[153:154]
	v_fma_f64 v[177:178], v[97:98], s[24:25], -v[177:178]
	v_add_f64 v[145:146], v[165:166], v[155:156]
	v_add_f64 v[151:152], v[159:160], v[151:152]
	v_fma_f64 v[155:156], v[131:132], s[26:27], v[167:168]
	v_add_f64 v[149:150], v[171:172], v[157:158]
	v_fma_f64 v[157:158], v[133:134], s[20:21], v[185:186]
	v_mul_f64 v[159:160], v[125:126], s[28:29]
	v_fma_f64 v[165:166], v[131:132], s[20:21], -v[187:188]
	v_mul_f64 v[167:168], v[111:112], s[28:29]
	v_add_f64 v[153:154], v[177:178], v[153:154]
	v_fma_f64 v[161:162], v[89:90], s[6:7], v[161:162]
	v_add_f64 v[155:156], v[0:1], v[155:156]
	v_fma_f64 v[169:170], v[95:96], s[14:15], -v[169:170]
	v_add_f64 v[157:158], v[2:3], v[157:158]
	v_fma_f64 v[171:172], v[105:106], s[24:25], v[159:160]
	v_mul_f64 v[177:178], v[123:124], s[8:9]
	v_add_f64 v[165:166], v[0:1], v[165:166]
	v_fma_f64 v[189:190], v[89:90], s[24:25], -v[167:168]
	v_mul_f64 v[191:192], v[109:110], s[8:9]
	v_add_f64 v[155:156], v[161:162], v[155:156]
	v_fma_f64 v[161:162], v[83:84], s[24:25], v[181:182]
	v_add_f64 v[153:154], v[169:170], v[153:154]
	v_add_f64 v[157:158], v[171:172], v[157:158]
	v_fma_f64 v[169:170], v[97:98], s[6:7], v[177:178]
	v_mul_f64 v[171:172], v[113:114], s[40:41]
	v_add_f64 v[165:166], v[189:190], v[165:166]
	v_fma_f64 v[181:182], v[83:84], s[6:7], -v[191:192]
	v_mul_f64 v[189:190], v[103:104], s[40:41]
	v_add_f64 v[155:156], v[161:162], v[155:156]
	v_fma_f64 v[161:162], v[50:51], s[14:15], v[179:180]
	v_fma_f64 v[175:176], v[85:86], s[20:21], -v[175:176]
	v_add_f64 v[157:158], v[169:170], v[157:158]
	v_fma_f64 v[169:170], v[95:96], s[16:17], v[171:172]
	v_mul_f64 v[179:180], v[107:108], s[34:35]
	v_add_f64 v[165:166], v[181:182], v[165:166]
	v_fma_f64 v[181:182], v[50:51], s[16:17], -v[189:190]
	v_mul_f64 v[193:194], v[48:49], s[34:35]
	v_add_f64 v[129:130], v[2:3], v[129:130]
	v_add_f64 v[127:128], v[0:1], v[127:128]
	;; [unrolled: 1-line block ×3, first 2 shown]
	v_fma_f64 v[161:162], v[32:33], s[20:21], v[173:174]
	v_add_f64 v[153:154], v[175:176], v[153:154]
	v_fma_f64 v[163:164], v[46:47], s[16:17], -v[163:164]
	v_add_f64 v[157:158], v[169:170], v[157:158]
	v_fma_f64 v[169:170], v[85:86], s[26:27], v[179:180]
	v_add_f64 v[165:166], v[181:182], v[165:166]
	v_fma_f64 v[173:174], v[32:33], s[26:27], -v[193:194]
	v_mul_f64 v[175:176], v[91:92], s[22:23]
	v_add_f64 v[121:122], v[129:130], v[121:122]
	v_add_f64 v[119:120], v[127:128], v[119:120]
	v_fma_f64 v[181:182], v[34:35], s[16:17], v[183:184]
	v_mul_f64 v[183:184], v[44:45], s[22:23]
	s_mov_b32 s23, 0xbfddbe06
	v_add_f64 v[161:162], v[161:162], v[155:156]
	v_add_f64 v[155:156], v[163:164], v[153:154]
	;; [unrolled: 1-line block ×4, first 2 shown]
	v_fma_f64 v[165:166], v[46:47], s[14:15], v[175:176]
	v_mul_f64 v[169:170], v[137:138], s[22:23]
	v_add_f64 v[117:118], v[121:122], v[117:118]
	v_add_f64 v[115:116], v[119:120], v[115:116]
	v_fma_f64 v[185:186], v[133:134], s[20:21], -v[185:186]
	v_add_f64 v[153:154], v[181:182], v[161:162]
	v_mul_f64 v[161:162], v[135:136], s[22:23]
	v_fma_f64 v[173:174], v[34:35], s[14:15], -v[183:184]
	v_add_f64 v[137:138], v[165:166], v[157:158]
	v_fma_f64 v[157:158], v[131:132], s[20:21], v[187:188]
	v_fma_f64 v[165:166], v[133:134], s[14:15], v[169:170]
	v_add_f64 v[101:102], v[117:118], v[101:102]
	v_add_f64 v[99:100], v[115:116], v[99:100]
	;; [unrolled: 1-line block ×3, first 2 shown]
	v_fma_f64 v[159:160], v[105:106], s[24:25], -v[159:160]
	v_fma_f64 v[133:134], v[133:134], s[14:15], -v[169:170]
	;; [unrolled: 1-line block ×3, first 2 shown]
	v_fma_f64 v[131:132], v[131:132], s[14:15], v[161:162]
	v_add_f64 v[157:158], v[0:1], v[157:158]
	v_add_f64 v[161:162], v[2:3], v[165:166]
	v_fma_f64 v[165:166], v[89:90], s[24:25], v[167:168]
	v_add_f64 v[93:94], v[101:102], v[93:94]
	v_add_f64 v[87:88], v[99:100], v[87:88]
	;; [unrolled: 1-line block ×4, first 2 shown]
	v_fma_f64 v[163:164], v[97:98], s[6:7], -v[177:178]
	v_add_f64 v[2:3], v[2:3], v[133:134]
	v_mul_f64 v[125:126], v[125:126], s[30:31]
	v_add_f64 v[133:134], v[165:166], v[157:158]
	v_fma_f64 v[157:158], v[83:84], s[6:7], v[191:192]
	v_add_f64 v[81:82], v[93:94], v[81:82]
	v_add_f64 v[79:80], v[87:88], v[79:80]
	v_mul_f64 v[111:112], v[111:112], s[30:31]
	v_add_f64 v[159:160], v[163:164], v[159:160]
	v_fma_f64 v[163:164], v[95:96], s[16:17], -v[171:172]
	v_fma_f64 v[119:120], v[50:51], s[16:17], v[189:190]
	v_add_f64 v[167:168], v[0:1], v[169:170]
	v_add_f64 v[133:134], v[157:158], v[133:134]
	;; [unrolled: 1-line block ×5, first 2 shown]
	v_mul_f64 v[123:124], v[123:124], s[36:37]
	v_mul_f64 v[109:110], v[109:110], s[36:37]
	v_fma_f64 v[99:100], v[105:106], s[20:21], -v[125:126]
	v_fma_f64 v[79:80], v[89:90], s[20:21], v[111:112]
	v_add_f64 v[127:128], v[163:164], v[159:160]
	v_fma_f64 v[129:130], v[85:86], s[26:27], -v[179:180]
	v_fma_f64 v[131:132], v[105:106], s[20:21], v[125:126]
	v_add_f64 v[115:116], v[119:120], v[133:134]
	v_fma_f64 v[119:120], v[89:90], s[20:21], -v[111:112]
	v_add_f64 v[42:43], v[77:78], v[42:43]
	v_add_f64 v[40:41], v[75:76], v[40:41]
	v_mul_f64 v[113:114], v[113:114], s[28:29]
	v_mul_f64 v[101:102], v[107:108], s[18:19]
	v_fma_f64 v[107:108], v[83:84], s[26:27], -v[109:110]
	v_mul_f64 v[103:104], v[103:104], s[28:29]
	v_fma_f64 v[87:88], v[97:98], s[26:27], -v[123:124]
	v_add_f64 v[2:3], v[99:100], v[2:3]
	v_fma_f64 v[83:84], v[83:84], s[26:27], v[109:110]
	v_add_f64 v[0:1], v[79:80], v[0:1]
	v_add_f64 v[121:122], v[129:130], v[127:128]
	;; [unrolled: 1-line block ×3, first 2 shown]
	v_fma_f64 v[129:130], v[97:98], s[26:27], v[123:124]
	v_add_f64 v[105:106], v[119:120], v[167:168]
	v_add_f64 v[42:43], v[42:43], v[73:74]
	;; [unrolled: 1-line block ×3, first 2 shown]
	v_fma_f64 v[99:100], v[50:51], s[24:25], -v[103:104]
	v_fma_f64 v[89:90], v[95:96], s[24:25], -v[113:114]
	v_add_f64 v[2:3], v[87:88], v[2:3]
	v_mul_f64 v[77:78], v[91:92], s[8:9]
	v_fma_f64 v[50:51], v[50:51], s[24:25], v[103:104]
	v_mul_f64 v[48:49], v[48:49], s[18:19]
	v_add_f64 v[0:1], v[83:84], v[0:1]
	v_add_f64 v[127:128], v[129:130], v[127:128]
	v_fma_f64 v[129:130], v[95:96], s[24:25], v[113:114]
	v_add_f64 v[97:98], v[107:108], v[105:106]
	v_mul_f64 v[44:45], v[44:45], s[8:9]
	v_add_f64 v[38:39], v[42:43], v[38:39]
	v_add_f64 v[36:37], v[40:41], v[36:37]
	v_fma_f64 v[75:76], v[85:86], s[16:17], -v[101:102]
	v_add_f64 v[2:3], v[89:90], v[2:3]
	v_fma_f64 v[71:72], v[46:47], s[14:15], -v[175:176]
	v_fma_f64 v[73:74], v[46:47], s[6:7], v[77:78]
	v_fma_f64 v[46:47], v[46:47], s[6:7], -v[77:78]
	v_fma_f64 v[77:78], v[32:33], s[16:17], v[48:49]
	v_add_f64 v[0:1], v[50:51], v[0:1]
	v_fma_f64 v[117:118], v[32:33], s[26:27], v[193:194]
	v_add_f64 v[119:120], v[129:130], v[127:128]
	;; [unrolled: 2-line block ×3, first 2 shown]
	v_fma_f64 v[32:33], v[32:33], s[16:17], -v[48:49]
	v_fma_f64 v[42:43], v[34:35], s[14:15], v[183:184]
	v_fma_f64 v[48:49], v[34:35], s[6:7], -v[44:45]
	v_fma_f64 v[44:45], v[34:35], s[6:7], v[44:45]
	v_add_f64 v[30:31], v[38:39], v[30:31]
	v_add_f64 v[34:35], v[36:37], v[28:29]
	;; [unrolled: 1-line block ×13, first 2 shown]
	v_lshrrev_b32_e32 v24, 2, v54
	v_mul_u32_u24_e32 v24, 52, v24
	v_or_b32_e32 v24, v24, v144
	v_lshlrev_b32_e32 v24, 4, v24
	v_add3_u32 v24, 0, v24, v63
	v_add_f64 v[28:29], v[73:74], v[81:82]
	v_add_f64 v[26:27], v[48:49], v[50:51]
	ds_write_b128 v24, v[34:37]
	ds_write_b128 v24, v[30:33] offset:64
	ds_write_b128 v24, v[0:3] offset:128
	;; [unrolled: 1-line block ×12, first 2 shown]
.LBB0_16:
	s_or_b64 exec, exec, s[4:5]
	v_subrev_u32_e32 v0, 52, v54
	v_cmp_gt_u32_e32 vcc, 52, v54
	v_cndmask_b32_e32 v1, v0, v54, vcc
	v_mov_b32_e32 v2, 0
	s_movk_i32 s4, 0x4f
	v_lshlrev_b64 v[3:4], 4, v[1:2]
	v_mul_lo_u16_sdwa v5, v58, s4 dst_sel:DWORD dst_unused:UNUSED_PAD src0_sel:BYTE_0 src1_sel:DWORD
	v_lshrrev_b16_e32 v107, 12, v5
	v_mov_b32_e32 v0, s13
	v_add_co_u32_e32 v3, vcc, s12, v3
	v_mul_lo_u16_e32 v5, 52, v107
	v_mul_lo_u16_sdwa v109, v66, s4 dst_sel:DWORD dst_unused:UNUSED_PAD src0_sel:BYTE_0 src1_sel:DWORD
	v_addc_co_u32_e32 v4, vcc, v0, v4, vcc
	v_sub_u16_e32 v6, v58, v5
	v_mov_b32_e32 v5, 4
	v_lshrrev_b16_e32 v110, 12, v109
	s_movk_i32 s4, 0x4ec5
	s_waitcnt lgkmcnt(0)
	s_barrier
	v_lshlrev_b32_sdwa v108, v5, v6 dst_sel:DWORD dst_unused:UNUSED_PAD src0_sel:DWORD src1_sel:BYTE_0
	global_load_dwordx4 v[6:9], v[3:4], off offset:800
	global_load_dwordx4 v[10:13], v108, s[12:13] offset:800
	v_mul_lo_u16_e32 v3, 52, v110
	v_mul_u32_u24_sdwa v112, v64, s4 dst_sel:DWORD dst_unused:UNUSED_PAD src0_sel:WORD_0 src1_sel:DWORD
	v_sub_u16_e32 v3, v66, v3
	v_lshrrev_b32_e32 v113, 20, v112
	v_lshlrev_b32_sdwa v111, v5, v3 dst_sel:DWORD dst_unused:UNUSED_PAD src0_sel:DWORD src1_sel:BYTE_0
	v_mul_lo_u16_e32 v3, 52, v113
	v_sub_u16_e32 v3, v64, v3
	v_lshlrev_b32_e32 v114, 4, v3
	v_mul_u32_u24_sdwa v3, v62, s4 dst_sel:DWORD dst_unused:UNUSED_PAD src0_sel:WORD_0 src1_sel:DWORD
	v_lshrrev_b32_e32 v115, 20, v3
	v_mul_lo_u16_e32 v3, 52, v115
	v_sub_u16_e32 v3, v62, v3
	global_load_dwordx4 v[14:17], v111, s[12:13] offset:800
	global_load_dwordx4 v[18:21], v114, s[12:13] offset:800
	v_lshlrev_b32_e32 v116, 4, v3
	v_mul_u32_u24_sdwa v3, v60, s4 dst_sel:DWORD dst_unused:UNUSED_PAD src0_sel:WORD_0 src1_sel:DWORD
	v_lshrrev_b32_e32 v117, 20, v3
	v_mul_lo_u16_e32 v3, 52, v117
	v_sub_u16_e32 v3, v60, v3
	global_load_dwordx4 v[22:25], v116, s[12:13] offset:800
	v_lshlrev_b32_e32 v118, 4, v3
	global_load_dwordx4 v[26:29], v118, s[12:13] offset:800
	v_mov_b32_e32 v3, 0x680
	v_cmp_lt_u32_e32 vcc, 51, v54
	v_cndmask_b32_e32 v3, 0, v3, vcc
	v_add_u32_e32 v3, 0, v3
	v_lshlrev_b32_e32 v1, 4, v1
	ds_read_b128 v[30:33], v61
	ds_read_b128 v[34:37], v59 offset:7488
	ds_read_b128 v[38:41], v59 offset:8736
	;; [unrolled: 1-line block ×3, first 2 shown]
	ds_read_b128 v[46:49], v140
	ds_read_b128 v[71:74], v65
	ds_read_b128 v[75:78], v59 offset:11232
	ds_read_b128 v[79:82], v59 offset:12480
	ds_read_b128 v[83:86], v142
	ds_read_b128 v[87:90], v143
	;; [unrolled: 1-line block ×3, first 2 shown]
	ds_read_b128 v[95:98], v59 offset:13728
	v_add3_u32 v1, v3, v1, v63
	s_movk_i32 s4, 0x680
	s_waitcnt vmcnt(0) lgkmcnt(0)
	s_barrier
	s_mov_b32 s7, 0x3febb67a
	s_movk_i32 s8, 0x1380
	s_movk_i32 s9, 0x1000
	v_mul_f64 v[3:4], v[36:37], v[8:9]
	v_mul_f64 v[8:9], v[34:35], v[8:9]
	;; [unrolled: 1-line block ×4, first 2 shown]
	v_fma_f64 v[3:4], v[34:35], v[6:7], v[3:4]
	v_fma_f64 v[8:9], v[36:37], v[6:7], -v[8:9]
	v_fma_f64 v[34:35], v[38:39], v[10:11], v[50:51]
	v_fma_f64 v[12:13], v[40:41], v[10:11], -v[12:13]
	v_mul_f64 v[99:100], v[44:45], v[16:17]
	v_mul_f64 v[16:17], v[42:43], v[16:17]
	v_mul_f64 v[101:102], v[77:78], v[20:21]
	v_mul_f64 v[20:21], v[75:76], v[20:21]
	v_add_f64 v[6:7], v[30:31], -v[3:4]
	v_add_f64 v[8:9], v[32:33], -v[8:9]
	;; [unrolled: 1-line block ×3, first 2 shown]
	v_mul_f64 v[103:104], v[81:82], v[24:25]
	v_mul_f64 v[24:25], v[79:80], v[24:25]
	;; [unrolled: 1-line block ×4, first 2 shown]
	v_fma_f64 v[36:37], v[42:43], v[14:15], v[99:100]
	v_fma_f64 v[16:17], v[44:45], v[14:15], -v[16:17]
	v_fma_f64 v[38:39], v[75:76], v[18:19], v[101:102]
	v_fma_f64 v[20:21], v[77:78], v[18:19], -v[20:21]
	;; [unrolled: 2-line block ×4, first 2 shown]
	v_add_f64 v[12:13], v[93:94], -v[12:13]
	v_add_f64 v[14:15], v[46:47], -v[36:37]
	;; [unrolled: 1-line block ×7, first 2 shown]
	v_fma_f64 v[30:31], v[30:31], 2.0, -v[6:7]
	v_fma_f64 v[32:33], v[32:33], 2.0, -v[8:9]
	v_add_f64 v[26:27], v[87:88], -v[42:43]
	v_add_f64 v[28:29], v[89:90], -v[28:29]
	v_fma_f64 v[34:35], v[91:92], 2.0, -v[10:11]
	v_fma_f64 v[36:37], v[93:94], 2.0, -v[12:13]
	;; [unrolled: 1-line block ×8, first 2 shown]
	ds_write_b128 v1, v[30:33]
	ds_write_b128 v1, v[6:9] offset:832
	v_mad_u32_u24 v1, v107, s4, 0
	v_add3_u32 v1, v1, v108, v63
	v_fma_f64 v[71:72], v[87:88], 2.0, -v[26:27]
	v_fma_f64 v[73:74], v[89:90], 2.0, -v[28:29]
	ds_write_b128 v1, v[34:37]
	ds_write_b128 v1, v[10:13] offset:832
	v_mad_u32_u24 v1, v110, s4, 0
	v_add3_u32 v1, v1, v111, v63
	ds_write_b128 v1, v[38:41]
	ds_write_b128 v1, v[14:17] offset:832
	v_mad_u32_u24 v1, v113, s4, 0
	v_add3_u32 v1, v1, v114, v63
	;; [unrolled: 4-line block ×4, first 2 shown]
	ds_write_b128 v1, v[71:74]
	ds_write_b128 v1, v[26:29] offset:832
	v_mov_b32_e32 v71, v2
	v_lshlrev_b64 v[3:4], 4, v[70:71]
	s_waitcnt lgkmcnt(0)
	v_add_co_u32_e32 v3, vcc, s12, v3
	v_addc_co_u32_e32 v4, vcc, v0, v4, vcc
	s_barrier
	global_load_dwordx4 v[6:9], v[3:4], off offset:1648
	global_load_dwordx4 v[10:13], v[3:4], off offset:1632
	v_subrev_u32_e32 v1, 26, v54
	v_cmp_gt_u32_e32 vcc, 26, v54
	v_cndmask_b32_e32 v120, v1, v58, vcc
	v_lshlrev_b32_e32 v1, 1, v120
	v_lshlrev_b64 v[14:15], 4, v[1:2]
	v_lshrrev_b16_e32 v1, 13, v109
	v_add_co_u32_e32 v22, vcc, s12, v14
	v_addc_co_u32_e32 v23, vcc, v0, v15, vcc
	global_load_dwordx4 v[14:17], v[22:23], off offset:1648
	global_load_dwordx4 v[18:21], v[22:23], off offset:1632
	v_mul_lo_u16_e32 v22, 0x68, v1
	v_sub_u16_e32 v121, v66, v22
	v_mov_b32_e32 v22, 5
	v_lshlrev_b32_sdwa v30, v22, v121 dst_sel:DWORD dst_unused:UNUSED_PAD src0_sel:DWORD src1_sel:BYTE_0
	global_load_dwordx4 v[22:25], v30, s[12:13] offset:1648
	global_load_dwordx4 v[26:29], v30, s[12:13] offset:1632
	v_lshrrev_b32_e32 v30, 21, v112
	v_mul_lo_u16_e32 v30, 0x68, v30
	v_sub_u16_e32 v122, v64, v30
	v_lshlrev_b32_e32 v38, 5, v122
	global_load_dwordx4 v[30:33], v38, s[12:13] offset:1632
	global_load_dwordx4 v[34:37], v38, s[12:13] offset:1648
	ds_read_b128 v[38:41], v142
	ds_read_b128 v[42:45], v143
	;; [unrolled: 1-line block ×3, first 2 shown]
	ds_read_b128 v[70:73], v59 offset:7488
	ds_read_b128 v[74:77], v59 offset:11232
	;; [unrolled: 1-line block ×3, first 2 shown]
	ds_read_b128 v[82:85], v140
	ds_read_b128 v[86:89], v65
	ds_read_b128 v[90:93], v59 offset:9984
	ds_read_b128 v[94:97], v59 offset:8736
	ds_read_b128 v[98:101], v141
	ds_read_b128 v[102:105], v59 offset:13728
	s_mov_b32 s4, 0xe8584caa
	s_mov_b32 s5, 0xbfebb67a
	;; [unrolled: 1-line block ×3, first 2 shown]
	s_waitcnt vmcnt(0) lgkmcnt(0)
	s_barrier
	v_cmp_lt_u32_e32 vcc, 25, v54
	v_mad_u32_u24 v1, v1, s8, 0
	v_lshlrev_b32_sdwa v5, v5, v121 dst_sel:DWORD dst_unused:UNUSED_PAD src0_sel:DWORD src1_sel:BYTE_0
	v_add3_u32 v1, v1, v5, v63
	s_movk_i32 s8, 0x1360
	v_mul_f64 v[106:107], v[92:93], v[8:9]
	v_mul_f64 v[50:51], v[40:41], v[12:13]
	;; [unrolled: 1-line block ×4, first 2 shown]
	v_fma_f64 v[38:39], v[38:39], v[10:11], v[50:51]
	v_fma_f64 v[50:51], v[90:91], v[6:7], v[106:107]
	v_mul_f64 v[110:111], v[76:77], v[16:17]
	v_mul_f64 v[108:109], v[44:45], v[20:21]
	;; [unrolled: 1-line block ×3, first 2 shown]
	v_fma_f64 v[10:11], v[40:41], v[10:11], -v[12:13]
	v_fma_f64 v[8:9], v[92:93], v[6:7], -v[8:9]
	v_mul_f64 v[20:21], v[42:43], v[20:21]
	v_mul_f64 v[112:113], v[72:73], v[28:29]
	;; [unrolled: 1-line block ×5, first 2 shown]
	v_add_f64 v[6:7], v[38:39], v[50:51]
	v_fma_f64 v[40:41], v[42:43], v[18:19], v[108:109]
	v_fma_f64 v[42:43], v[76:77], v[14:15], -v[16:17]
	v_add_f64 v[16:17], v[10:11], v[8:9]
	v_fma_f64 v[18:19], v[44:45], v[18:19], -v[20:21]
	v_fma_f64 v[20:21], v[74:75], v[14:15], v[110:111]
	v_fma_f64 v[44:45], v[70:71], v[26:27], v[112:113]
	v_fma_f64 v[70:71], v[72:73], v[26:27], -v[28:29]
	v_fma_f64 v[72:73], v[78:79], v[22:23], v[114:115]
	v_fma_f64 v[74:75], v[80:81], v[22:23], -v[24:25]
	v_add_f64 v[14:15], v[10:11], -v[8:9]
	v_fma_f64 v[22:23], v[6:7], -0.5, v[46:47]
	v_mul_f64 v[118:119], v[104:105], v[36:37]
	v_mul_f64 v[36:37], v[102:103], v[36:37]
	v_add_f64 v[12:13], v[46:47], v[38:39]
	v_add_f64 v[24:25], v[48:49], v[10:11]
	v_fma_f64 v[16:17], v[16:17], -0.5, v[48:49]
	v_add_f64 v[28:29], v[38:39], -v[50:51]
	v_mul_f64 v[116:117], v[96:97], v[32:33]
	v_mul_f64 v[32:33], v[94:95], v[32:33]
	v_add_f64 v[26:27], v[40:41], v[20:21]
	v_fma_f64 v[10:11], v[14:15], s[4:5], v[22:23]
	v_fma_f64 v[14:15], v[14:15], s[6:7], v[22:23]
	v_add_f64 v[22:23], v[18:19], v[42:43]
	v_fma_f64 v[46:47], v[102:103], v[34:35], v[118:119]
	v_fma_f64 v[78:79], v[104:105], v[34:35], -v[36:37]
	v_add_f64 v[34:35], v[44:45], v[72:73]
	v_add_f64 v[6:7], v[12:13], v[50:51]
	;; [unrolled: 1-line block ×4, first 2 shown]
	v_fma_f64 v[12:13], v[28:29], s[6:7], v[16:17]
	v_fma_f64 v[16:17], v[28:29], s[4:5], v[16:17]
	v_add_f64 v[28:29], v[100:101], v[18:19]
	v_fma_f64 v[76:77], v[94:95], v[30:31], v[116:117]
	v_fma_f64 v[32:33], v[96:97], v[30:31], -v[32:33]
	v_fma_f64 v[26:27], v[26:27], -0.5, v[98:99]
	v_add_f64 v[30:31], v[18:19], -v[42:43]
	v_fma_f64 v[36:37], v[22:23], -0.5, v[100:101]
	v_add_f64 v[38:39], v[40:41], -v[20:21]
	v_add_f64 v[40:41], v[82:83], v[44:45]
	v_fma_f64 v[48:49], v[34:35], -0.5, v[82:83]
	v_add_f64 v[50:51], v[70:71], -v[74:75]
	v_add_f64 v[18:19], v[24:25], v[20:21]
	v_add_f64 v[20:21], v[28:29], v[42:43]
	;; [unrolled: 1-line block ×3, first 2 shown]
	v_fma_f64 v[22:23], v[30:31], s[4:5], v[26:27]
	v_fma_f64 v[26:27], v[30:31], s[6:7], v[26:27]
	;; [unrolled: 1-line block ×4, first 2 shown]
	v_add_f64 v[30:31], v[40:41], v[72:73]
	v_add_f64 v[36:37], v[76:77], v[46:47]
	;; [unrolled: 1-line block ×3, first 2 shown]
	v_fma_f64 v[34:35], v[50:51], s[4:5], v[48:49]
	v_fma_f64 v[38:39], v[50:51], s[6:7], v[48:49]
	v_add_f64 v[48:49], v[84:85], v[70:71]
	v_fma_f64 v[42:43], v[42:43], -0.5, v[84:85]
	v_add_f64 v[44:45], v[44:45], -v[72:73]
	v_add_f64 v[50:51], v[86:87], v[76:77]
	v_add_f64 v[80:81], v[88:89], v[32:33]
	v_fma_f64 v[70:71], v[36:37], -0.5, v[86:87]
	v_add_f64 v[72:73], v[32:33], -v[78:79]
	v_fma_f64 v[82:83], v[40:41], -0.5, v[88:89]
	v_add_f64 v[76:77], v[76:77], -v[46:47]
	v_add_f64 v[32:33], v[48:49], v[74:75]
	v_fma_f64 v[36:37], v[44:45], s[6:7], v[42:43]
	v_fma_f64 v[40:41], v[44:45], s[4:5], v[42:43]
	v_add_f64 v[42:43], v[50:51], v[46:47]
	v_add_f64 v[44:45], v[80:81], v[78:79]
	v_fma_f64 v[46:47], v[72:73], s[4:5], v[70:71]
	v_fma_f64 v[70:71], v[72:73], s[6:7], v[70:71]
	;; [unrolled: 1-line block ×4, first 2 shown]
	ds_write_b128 v59, v[6:9]
	ds_write_b128 v59, v[10:13] offset:1664
	ds_write_b128 v59, v[14:17] offset:3328
	v_mov_b32_e32 v6, 0x1380
	v_cndmask_b32_e32 v6, 0, v6, vcc
	v_add_u32_e32 v6, 0, v6
	v_lshlrev_b32_e32 v7, 4, v120
	v_add3_u32 v6, v6, v7, v63
	ds_write_b128 v6, v[18:21]
	ds_write_b128 v6, v[22:25] offset:1664
	ds_write_b128 v6, v[26:29] offset:3328
	ds_write_b128 v1, v[30:33]
	ds_write_b128 v1, v[34:37] offset:1664
	ds_write_b128 v1, v[38:41] offset:3328
	v_lshlrev_b32_e32 v1, 4, v122
	v_add_co_u32_e32 v7, vcc, s8, v3
	v_add3_u32 v1, 0, v1, v63
	v_addc_co_u32_e32 v8, vcc, 0, v4, vcc
	ds_write_b128 v1, v[42:45] offset:9984
	ds_write_b128 v1, v[46:49] offset:11648
	;; [unrolled: 1-line block ×3, first 2 shown]
	v_add_co_u32_e32 v3, vcc, s9, v3
	v_mov_b32_e32 v70, v2
	v_addc_co_u32_e32 v4, vcc, 0, v4, vcc
	v_lshlrev_b64 v[11:12], 4, v[69:70]
	s_waitcnt lgkmcnt(0)
	s_barrier
	global_load_dwordx4 v[3:6], v[3:4], off offset:864
	s_nop 0
	global_load_dwordx4 v[7:10], v[7:8], off offset:16
	v_add_co_u32_e32 v1, vcc, s12, v11
	v_addc_co_u32_e32 v11, vcc, v0, v12, vcc
	v_add_co_u32_e32 v19, vcc, s8, v1
	v_addc_co_u32_e32 v20, vcc, 0, v11, vcc
	;; [unrolled: 2-line block ×3, first 2 shown]
	v_mov_b32_e32 v69, v2
	global_load_dwordx4 v[11:14], v[21:22], off offset:864
	global_load_dwordx4 v[15:18], v[19:20], off offset:16
	v_lshlrev_b64 v[19:20], 4, v[68:69]
	v_mov_b32_e32 v68, v2
	v_add_co_u32_e32 v1, vcc, s12, v19
	v_addc_co_u32_e32 v19, vcc, v0, v20, vcc
	v_add_co_u32_e32 v27, vcc, s8, v1
	v_addc_co_u32_e32 v28, vcc, 0, v19, vcc
	;; [unrolled: 2-line block ×3, first 2 shown]
	global_load_dwordx4 v[19:22], v[29:30], off offset:864
	global_load_dwordx4 v[23:26], v[27:28], off offset:16
	v_lshlrev_b64 v[27:28], 4, v[67:68]
	v_add_co_u32_e32 v31, vcc, s12, v27
	v_addc_co_u32_e32 v32, vcc, v0, v28, vcc
	v_add_co_u32_e32 v0, vcc, s9, v31
	v_addc_co_u32_e32 v1, vcc, 0, v32, vcc
	global_load_dwordx4 v[27:30], v[0:1], off offset:864
	v_add_co_u32_e32 v0, vcc, s8, v31
	v_addc_co_u32_e32 v1, vcc, 0, v32, vcc
	global_load_dwordx4 v[31:34], v[0:1], off offset:16
	ds_read_b128 v[35:38], v59 offset:9984
	ds_read_b128 v[39:42], v142
	ds_read_b128 v[43:46], v143
	;; [unrolled: 1-line block ×3, first 2 shown]
	ds_read_b128 v[67:70], v59 offset:7488
	ds_read_b128 v[71:74], v59 offset:11232
	;; [unrolled: 1-line block ×3, first 2 shown]
	ds_read_b128 v[79:82], v140
	ds_read_b128 v[83:86], v65
	ds_read_b128 v[87:90], v59 offset:8736
	ds_read_b128 v[91:94], v141
	ds_read_b128 v[95:98], v59 offset:13728
	s_waitcnt vmcnt(0) lgkmcnt(0)
	s_barrier
	v_cmp_ne_u32_e32 vcc, 0, v54
	v_mul_f64 v[0:1], v[41:42], v[5:6]
	v_mul_f64 v[5:6], v[39:40], v[5:6]
	v_mul_f64 v[99:100], v[37:38], v[9:10]
	v_mul_f64 v[9:10], v[35:36], v[9:10]
	v_fma_f64 v[0:1], v[39:40], v[3:4], v[0:1]
	v_fma_f64 v[3:4], v[41:42], v[3:4], -v[5:6]
	v_fma_f64 v[9:10], v[37:38], v[7:8], -v[9:10]
	v_mul_f64 v[5:6], v[43:44], v[13:14]
	v_mul_f64 v[101:102], v[45:46], v[13:14]
	v_fma_f64 v[13:14], v[35:36], v[7:8], v[99:100]
	v_mul_f64 v[35:36], v[73:74], v[17:18]
	v_mul_f64 v[7:8], v[71:72], v[17:18]
	v_fma_f64 v[39:40], v[45:46], v[11:12], -v[5:6]
	v_fma_f64 v[17:18], v[43:44], v[11:12], v[101:102]
	v_fma_f64 v[35:36], v[71:72], v[15:16], v[35:36]
	v_mul_f64 v[37:38], v[69:70], v[21:22]
	v_mul_f64 v[5:6], v[77:78], v[25:26]
	;; [unrolled: 1-line block ×3, first 2 shown]
	v_fma_f64 v[25:26], v[73:74], v[15:16], -v[7:8]
	v_mul_f64 v[21:22], v[67:68], v[21:22]
	v_fma_f64 v[37:38], v[67:68], v[19:20], v[37:38]
	v_fma_f64 v[43:44], v[77:78], v[23:24], -v[11:12]
	v_mul_f64 v[7:8], v[89:90], v[29:30]
	v_mul_f64 v[15:16], v[87:88], v[29:30]
	v_fma_f64 v[29:30], v[75:76], v[23:24], v[5:6]
	v_add_f64 v[5:6], v[0:1], v[13:14]
	v_fma_f64 v[41:42], v[69:70], v[19:20], -v[21:22]
	v_mul_f64 v[11:12], v[97:98], v[33:34]
	v_add_f64 v[19:20], v[47:48], v[0:1]
	v_add_f64 v[21:22], v[3:4], -v[9:10]
	v_fma_f64 v[45:46], v[87:88], v[27:28], v[7:8]
	v_mul_f64 v[7:8], v[95:96], v[33:34]
	v_fma_f64 v[33:34], v[89:90], v[27:28], -v[15:16]
	v_add_f64 v[15:16], v[3:4], v[9:10]
	v_fma_f64 v[5:6], v[5:6], -0.5, v[47:48]
	v_add_f64 v[23:24], v[49:50], v[3:4]
	v_add_f64 v[0:1], v[0:1], -v[13:14]
	v_fma_f64 v[47:48], v[95:96], v[31:32], v[11:12]
	v_add_f64 v[3:4], v[19:20], v[13:14]
	v_fma_f64 v[67:68], v[97:98], v[31:32], -v[7:8]
	v_add_f64 v[19:20], v[17:18], v[35:36]
	v_fma_f64 v[15:16], v[15:16], -0.5, v[49:50]
	v_fma_f64 v[7:8], v[21:22], s[4:5], v[5:6]
	v_fma_f64 v[11:12], v[21:22], s[6:7], v[5:6]
	v_add_f64 v[5:6], v[23:24], v[9:10]
	v_add_f64 v[21:22], v[39:40], v[25:26]
	;; [unrolled: 1-line block ×4, first 2 shown]
	v_fma_f64 v[27:28], v[19:20], -0.5, v[91:92]
	v_fma_f64 v[9:10], v[0:1], s[6:7], v[15:16]
	v_fma_f64 v[13:14], v[0:1], s[4:5], v[15:16]
	v_add_f64 v[0:1], v[93:94], v[39:40]
	v_add_f64 v[31:32], v[39:40], -v[25:26]
	v_fma_f64 v[39:40], v[21:22], -0.5, v[93:94]
	v_add_f64 v[69:70], v[17:18], -v[35:36]
	v_add_f64 v[15:16], v[23:24], v[35:36]
	v_add_f64 v[35:36], v[79:80], v[37:38]
	v_fma_f64 v[49:50], v[49:50], -0.5, v[79:80]
	v_add_f64 v[71:72], v[41:42], -v[43:44]
	v_add_f64 v[17:18], v[0:1], v[25:26]
	v_add_f64 v[0:1], v[41:42], v[43:44]
	v_fma_f64 v[19:20], v[31:32], s[4:5], v[27:28]
	v_fma_f64 v[23:24], v[31:32], s[6:7], v[27:28]
	;; [unrolled: 1-line block ×4, first 2 shown]
	v_add_f64 v[27:28], v[35:36], v[29:30]
	v_add_f64 v[39:40], v[45:46], v[47:48]
	v_fma_f64 v[31:32], v[71:72], s[4:5], v[49:50]
	v_fma_f64 v[35:36], v[71:72], s[6:7], v[49:50]
	v_add_f64 v[49:50], v[33:34], v[67:68]
	v_add_f64 v[41:42], v[81:82], v[41:42]
	v_fma_f64 v[0:1], v[0:1], -0.5, v[81:82]
	v_add_f64 v[37:38], v[37:38], -v[29:30]
	v_add_f64 v[69:70], v[83:84], v[45:46]
	v_fma_f64 v[71:72], v[39:40], -0.5, v[83:84]
	v_add_f64 v[73:74], v[33:34], -v[67:68]
	;; [unrolled: 3-line block ×3, first 2 shown]
	v_add_f64 v[29:30], v[41:42], v[43:44]
	v_fma_f64 v[33:34], v[37:38], s[6:7], v[0:1]
	v_fma_f64 v[37:38], v[37:38], s[4:5], v[0:1]
	v_add_f64 v[39:40], v[69:70], v[47:48]
	v_fma_f64 v[43:44], v[73:74], s[4:5], v[71:72]
	v_fma_f64 v[47:48], v[73:74], s[6:7], v[71:72]
	;; [unrolled: 3-line block ×3, first 2 shown]
	ds_write_b128 v59, v[3:6]
	ds_write_b128 v59, v[7:10] offset:4992
	ds_write_b128 v59, v[11:14] offset:9984
	ds_write_b128 v141, v[15:18]
	ds_write_b128 v141, v[19:22] offset:4992
	ds_write_b128 v141, v[23:26] offset:9984
	;; [unrolled: 3-line block ×4, first 2 shown]
	s_waitcnt lgkmcnt(0)
	s_barrier
	ds_read_b128 v[4:7], v61
	s_add_u32 s6, s12, 0x3a60
	s_addc_u32 s7, s13, 0
	v_sub_u32_e32 v12, v139, v55
                                        ; implicit-def: $vgpr0_vgpr1
                                        ; implicit-def: $vgpr8_vgpr9
                                        ; implicit-def: $vgpr10_vgpr11
	s_and_saveexec_b64 s[4:5], vcc
	s_xor_b64 s[4:5], exec, s[4:5]
	s_cbranch_execz .LBB0_18
; %bb.17:
	v_mov_b32_e32 v55, v2
	v_lshlrev_b64 v[0:1], 4, v[54:55]
	v_mov_b32_e32 v2, s7
	v_add_co_u32_e32 v0, vcc, s6, v0
	v_addc_co_u32_e32 v1, vcc, v2, v1, vcc
	global_load_dwordx4 v[13:16], v[0:1], off
	ds_read_b128 v[0:3], v12 offset:14976
	s_waitcnt lgkmcnt(0)
	v_add_f64 v[8:9], v[4:5], -v[0:1]
	v_add_f64 v[10:11], v[6:7], v[2:3]
	v_add_f64 v[2:3], v[6:7], -v[2:3]
	v_add_f64 v[0:1], v[4:5], v[0:1]
	v_mul_f64 v[6:7], v[8:9], 0.5
	v_mul_f64 v[4:5], v[10:11], 0.5
	;; [unrolled: 1-line block ×3, first 2 shown]
	s_waitcnt vmcnt(0)
	v_mul_f64 v[8:9], v[6:7], v[15:16]
	v_fma_f64 v[10:11], v[4:5], v[15:16], v[2:3]
	v_fma_f64 v[2:3], v[4:5], v[15:16], -v[2:3]
	v_fma_f64 v[17:18], v[0:1], 0.5, v[8:9]
	v_fma_f64 v[0:1], v[0:1], 0.5, -v[8:9]
	v_fma_f64 v[10:11], -v[13:14], v[6:7], v[10:11]
	v_fma_f64 v[2:3], -v[13:14], v[6:7], v[2:3]
	v_fma_f64 v[8:9], v[4:5], v[13:14], v[17:18]
	v_fma_f64 v[0:1], -v[4:5], v[13:14], v[0:1]
                                        ; implicit-def: $vgpr4_vgpr5
.LBB0_18:
	s_andn2_saveexec_b64 s[4:5], s[4:5]
	s_cbranch_execz .LBB0_20
; %bb.19:
	s_waitcnt lgkmcnt(0)
	v_add_f64 v[8:9], v[4:5], v[6:7]
	ds_read_b64 v[2:3], v139 offset:7496
	v_add_f64 v[0:1], v[4:5], -v[6:7]
	v_mov_b32_e32 v10, 0
	v_mov_b32_e32 v11, 0
	s_waitcnt lgkmcnt(0)
	v_xor_b32_e32 v3, 0x80000000, v3
	ds_write_b64 v139, v[2:3] offset:7496
	v_mov_b32_e32 v2, v10
	v_mov_b32_e32 v3, v11
.LBB0_20:
	s_or_b64 exec, exec, s[4:5]
	v_mov_b32_e32 v59, 0
	s_waitcnt lgkmcnt(0)
	v_lshlrev_b64 v[4:5], 4, v[58:59]
	v_mov_b32_e32 v6, s7
	v_add_co_u32_e32 v4, vcc, s6, v4
	v_addc_co_u32_e32 v5, vcc, v6, v5, vcc
	global_load_dwordx4 v[4:7], v[4:5], off
	v_mov_b32_e32 v67, v59
	v_lshlrev_b64 v[13:14], 4, v[66:67]
	v_mov_b32_e32 v15, s7
	v_add_co_u32_e32 v13, vcc, s6, v13
	v_addc_co_u32_e32 v14, vcc, v15, v14, vcc
	global_load_dwordx4 v[13:16], v[13:14], off
	ds_write2_b64 v61, v[8:9], v[10:11] offset1:1
	ds_write_b128 v12, v[0:3] offset:14976
	v_lshl_add_u32 v25, v58, 4, v139
	ds_read_b128 v[0:3], v25
	ds_read_b128 v[8:11], v12 offset:13728
	v_mov_b32_e32 v65, v59
	v_mov_b32_e32 v26, s7
	;; [unrolled: 1-line block ×4, first 2 shown]
	s_waitcnt lgkmcnt(0)
	v_add_f64 v[17:18], v[0:1], -v[8:9]
	v_add_f64 v[19:20], v[2:3], v[10:11]
	v_add_f64 v[2:3], v[2:3], -v[10:11]
	v_add_f64 v[0:1], v[0:1], v[8:9]
	v_mul_f64 v[10:11], v[17:18], 0.5
	v_mul_f64 v[17:18], v[19:20], 0.5
	;; [unrolled: 1-line block ×3, first 2 shown]
	v_lshlrev_b64 v[19:20], 4, v[64:65]
	s_waitcnt vmcnt(1)
	v_mul_f64 v[8:9], v[10:11], v[6:7]
	v_fma_f64 v[21:22], v[17:18], v[6:7], v[2:3]
	v_fma_f64 v[6:7], v[17:18], v[6:7], -v[2:3]
	v_fma_f64 v[23:24], v[0:1], 0.5, v[8:9]
	v_fma_f64 v[8:9], v[0:1], 0.5, -v[8:9]
	v_add_co_u32_e32 v0, vcc, s6, v19
	v_addc_co_u32_e32 v1, vcc, v26, v20, vcc
	global_load_dwordx4 v[0:3], v[0:1], off
	v_fma_f64 v[19:20], -v[4:5], v[10:11], v[21:22]
	v_fma_f64 v[6:7], -v[4:5], v[10:11], v[6:7]
	v_fma_f64 v[10:11], v[17:18], v[4:5], v[23:24]
	v_fma_f64 v[4:5], -v[17:18], v[4:5], v[8:9]
	v_lshl_add_u32 v26, v66, 4, v139
	ds_write2_b64 v25, v[10:11], v[19:20] offset1:1
	ds_write_b128 v12, v[4:7] offset:13728
	ds_read_b128 v[4:7], v26
	ds_read_b128 v[8:11], v12 offset:12480
	v_mov_b32_e32 v25, s7
	s_waitcnt lgkmcnt(0)
	v_add_f64 v[17:18], v[4:5], -v[8:9]
	v_add_f64 v[19:20], v[6:7], v[10:11]
	v_add_f64 v[6:7], v[6:7], -v[10:11]
	v_add_f64 v[4:5], v[4:5], v[8:9]
	v_mul_f64 v[10:11], v[17:18], 0.5
	v_mul_f64 v[17:18], v[19:20], 0.5
	;; [unrolled: 1-line block ×3, first 2 shown]
	v_lshlrev_b64 v[19:20], 4, v[62:63]
	s_waitcnt vmcnt(1)
	v_mul_f64 v[8:9], v[10:11], v[15:16]
	v_fma_f64 v[21:22], v[17:18], v[15:16], v[6:7]
	v_fma_f64 v[15:16], v[17:18], v[15:16], -v[6:7]
	v_fma_f64 v[23:24], v[4:5], 0.5, v[8:9]
	v_fma_f64 v[8:9], v[4:5], 0.5, -v[8:9]
	v_add_co_u32_e32 v4, vcc, s6, v19
	v_addc_co_u32_e32 v5, vcc, v25, v20, vcc
	global_load_dwordx4 v[4:7], v[4:5], off
	v_fma_f64 v[19:20], -v[13:14], v[10:11], v[21:22]
	v_fma_f64 v[10:11], -v[13:14], v[10:11], v[15:16]
	v_fma_f64 v[15:16], v[17:18], v[13:14], v[23:24]
	v_fma_f64 v[8:9], -v[17:18], v[13:14], v[8:9]
	v_lshl_add_u32 v25, v64, 4, v139
	ds_write2_b64 v26, v[15:16], v[19:20] offset1:1
	ds_write_b128 v12, v[8:11] offset:12480
	ds_read_b128 v[8:11], v25
	ds_read_b128 v[13:16], v12 offset:11232
	v_mov_b32_e32 v26, s7
	s_waitcnt lgkmcnt(0)
	v_add_f64 v[17:18], v[8:9], -v[13:14]
	v_add_f64 v[19:20], v[10:11], v[15:16]
	v_add_f64 v[10:11], v[10:11], -v[15:16]
	v_add_f64 v[8:9], v[8:9], v[13:14]
	v_mul_f64 v[15:16], v[17:18], 0.5
	v_mul_f64 v[17:18], v[19:20], 0.5
	;; [unrolled: 1-line block ×3, first 2 shown]
	v_lshlrev_b64 v[19:20], 4, v[60:61]
	s_waitcnt vmcnt(1)
	v_mul_f64 v[13:14], v[15:16], v[2:3]
	v_fma_f64 v[21:22], v[17:18], v[2:3], v[10:11]
	v_fma_f64 v[2:3], v[17:18], v[2:3], -v[10:11]
	v_fma_f64 v[23:24], v[8:9], 0.5, v[13:14]
	v_fma_f64 v[13:14], v[8:9], 0.5, -v[13:14]
	v_add_co_u32_e32 v8, vcc, s6, v19
	v_addc_co_u32_e32 v9, vcc, v26, v20, vcc
	global_load_dwordx4 v[8:11], v[8:9], off
	v_fma_f64 v[19:20], -v[0:1], v[15:16], v[21:22]
	v_fma_f64 v[2:3], -v[0:1], v[15:16], v[2:3]
	v_fma_f64 v[15:16], v[17:18], v[0:1], v[23:24]
	v_fma_f64 v[0:1], -v[17:18], v[0:1], v[13:14]
	v_lshl_add_u32 v21, v62, 4, v139
	ds_write2_b64 v25, v[15:16], v[19:20] offset1:1
	ds_write_b128 v12, v[0:3] offset:11232
	ds_read_b128 v[0:3], v21
	ds_read_b128 v[13:16], v12 offset:9984
	s_waitcnt lgkmcnt(0)
	v_add_f64 v[17:18], v[0:1], -v[13:14]
	v_add_f64 v[19:20], v[2:3], v[15:16]
	v_add_f64 v[2:3], v[2:3], -v[15:16]
	v_add_f64 v[0:1], v[0:1], v[13:14]
	v_mul_f64 v[15:16], v[17:18], 0.5
	v_mul_f64 v[17:18], v[19:20], 0.5
	;; [unrolled: 1-line block ×3, first 2 shown]
	s_waitcnt vmcnt(1)
	v_mul_f64 v[13:14], v[15:16], v[6:7]
	v_fma_f64 v[19:20], v[17:18], v[6:7], v[2:3]
	v_fma_f64 v[2:3], v[17:18], v[6:7], -v[2:3]
	v_fma_f64 v[6:7], v[0:1], 0.5, v[13:14]
	v_fma_f64 v[0:1], v[0:1], 0.5, -v[13:14]
	v_fma_f64 v[13:14], -v[4:5], v[15:16], v[19:20]
	v_fma_f64 v[2:3], -v[4:5], v[15:16], v[2:3]
	v_fma_f64 v[6:7], v[17:18], v[4:5], v[6:7]
	v_fma_f64 v[0:1], -v[17:18], v[4:5], v[0:1]
	v_lshl_add_u32 v17, v60, 4, v139
	ds_write2_b64 v21, v[6:7], v[13:14] offset1:1
	ds_write_b128 v12, v[0:3] offset:9984
	ds_read_b128 v[0:3], v17
	ds_read_b128 v[4:7], v12 offset:8736
	s_waitcnt lgkmcnt(0)
	v_add_f64 v[13:14], v[0:1], -v[4:5]
	v_add_f64 v[15:16], v[2:3], v[6:7]
	v_add_f64 v[2:3], v[2:3], -v[6:7]
	v_add_f64 v[0:1], v[0:1], v[4:5]
	v_mul_f64 v[6:7], v[13:14], 0.5
	v_mul_f64 v[13:14], v[15:16], 0.5
	;; [unrolled: 1-line block ×3, first 2 shown]
	s_waitcnt vmcnt(0)
	v_mul_f64 v[4:5], v[6:7], v[10:11]
	v_fma_f64 v[15:16], v[13:14], v[10:11], v[2:3]
	v_fma_f64 v[2:3], v[13:14], v[10:11], -v[2:3]
	v_fma_f64 v[10:11], v[0:1], 0.5, v[4:5]
	v_fma_f64 v[0:1], v[0:1], 0.5, -v[4:5]
	v_fma_f64 v[4:5], -v[8:9], v[6:7], v[15:16]
	v_fma_f64 v[2:3], -v[8:9], v[6:7], v[2:3]
	v_fma_f64 v[6:7], v[13:14], v[8:9], v[10:11]
	v_fma_f64 v[0:1], -v[13:14], v[8:9], v[0:1]
	ds_write2_b64 v17, v[6:7], v[4:5] offset1:1
	ds_write_b128 v12, v[0:3] offset:8736
	s_waitcnt lgkmcnt(0)
	s_barrier
	s_and_saveexec_b64 s[4:5], s[0:1]
	s_cbranch_execz .LBB0_23
; %bb.21:
	v_mul_lo_u32 v0, s3, v56
	v_mul_lo_u32 v3, s2, v57
	v_mad_u64_u32 v[1:2], s[0:1], s2, v56, 0
	v_mov_b32_e32 v7, s11
	v_mov_b32_e32 v55, v59
	v_add3_u32 v2, v2, v3, v0
	v_lshlrev_b64 v[1:2], 4, v[1:2]
	v_lshl_add_u32 v0, v54, 4, v139
	v_add_co_u32_e32 v1, vcc, s10, v1
	v_addc_co_u32_e32 v9, vcc, v7, v2, vcc
	v_lshlrev_b64 v[7:8], 4, v[52:53]
	ds_read_b128 v[3:6], v0
	v_add_co_u32_e32 v2, vcc, v1, v7
	v_addc_co_u32_e32 v1, vcc, v9, v8, vcc
	v_lshlrev_b64 v[7:8], 4, v[54:55]
	v_add_u32_e32 v58, 0x4e, v54
	v_add_co_u32_e32 v11, vcc, v2, v7
	v_addc_co_u32_e32 v12, vcc, v1, v8, vcc
	ds_read_b128 v[7:10], v0 offset:1248
	s_waitcnt lgkmcnt(1)
	global_store_dwordx4 v[11:12], v[3:6], off
	s_movk_i32 s0, 0x4d
	v_lshlrev_b64 v[3:4], 4, v[58:59]
	v_add_u32_e32 v58, 0x9c, v54
	v_add_co_u32_e32 v3, vcc, v2, v3
	v_addc_co_u32_e32 v4, vcc, v1, v4, vcc
	s_waitcnt lgkmcnt(0)
	global_store_dwordx4 v[3:4], v[7:10], off
	ds_read_b128 v[3:6], v0 offset:2496
	v_lshlrev_b64 v[7:8], 4, v[58:59]
	v_add_u32_e32 v58, 0xea, v54
	v_add_co_u32_e32 v11, vcc, v2, v7
	v_addc_co_u32_e32 v12, vcc, v1, v8, vcc
	ds_read_b128 v[7:10], v0 offset:3744
	s_waitcnt lgkmcnt(1)
	global_store_dwordx4 v[11:12], v[3:6], off
	s_nop 0
	v_lshlrev_b64 v[3:4], 4, v[58:59]
	v_add_u32_e32 v58, 0x138, v54
	v_add_co_u32_e32 v3, vcc, v2, v3
	v_addc_co_u32_e32 v4, vcc, v1, v4, vcc
	s_waitcnt lgkmcnt(0)
	global_store_dwordx4 v[3:4], v[7:10], off
	ds_read_b128 v[3:6], v0 offset:4992
	v_lshlrev_b64 v[7:8], 4, v[58:59]
	v_add_u32_e32 v58, 0x186, v54
	v_add_co_u32_e32 v11, vcc, v2, v7
	v_addc_co_u32_e32 v12, vcc, v1, v8, vcc
	ds_read_b128 v[7:10], v0 offset:6240
	s_waitcnt lgkmcnt(1)
	global_store_dwordx4 v[11:12], v[3:6], off
	s_nop 0
	;; [unrolled: 15-line block ×5, first 2 shown]
	v_lshlrev_b64 v[3:4], 4, v[58:59]
	v_add_co_u32_e32 v3, vcc, v2, v3
	v_addc_co_u32_e32 v4, vcc, v1, v4, vcc
	v_cmp_eq_u32_e32 vcc, s0, v54
	s_waitcnt lgkmcnt(0)
	global_store_dwordx4 v[3:4], v[7:10], off
	s_and_b64 exec, exec, vcc
	s_cbranch_execz .LBB0_23
; %bb.22:
	ds_read_b128 v[3:6], v0 offset:13744
	v_add_co_u32_e32 v0, vcc, 0x3000, v2
	v_addc_co_u32_e32 v1, vcc, 0, v1, vcc
	s_waitcnt lgkmcnt(0)
	global_store_dwordx4 v[0:1], v[3:6], off offset:2688
.LBB0_23:
	s_endpgm
	.section	.rodata,"a",@progbits
	.p2align	6, 0x0
	.amdhsa_kernel fft_rtc_back_len936_factors_2_2_13_2_3_3_wgs_234_tpt_78_halfLds_dp_op_CI_CI_unitstride_sbrr_R2C_dirReg
		.amdhsa_group_segment_fixed_size 0
		.amdhsa_private_segment_fixed_size 0
		.amdhsa_kernarg_size 104
		.amdhsa_user_sgpr_count 6
		.amdhsa_user_sgpr_private_segment_buffer 1
		.amdhsa_user_sgpr_dispatch_ptr 0
		.amdhsa_user_sgpr_queue_ptr 0
		.amdhsa_user_sgpr_kernarg_segment_ptr 1
		.amdhsa_user_sgpr_dispatch_id 0
		.amdhsa_user_sgpr_flat_scratch_init 0
		.amdhsa_user_sgpr_private_segment_size 0
		.amdhsa_uses_dynamic_stack 0
		.amdhsa_system_sgpr_private_segment_wavefront_offset 0
		.amdhsa_system_sgpr_workgroup_id_x 1
		.amdhsa_system_sgpr_workgroup_id_y 0
		.amdhsa_system_sgpr_workgroup_id_z 0
		.amdhsa_system_sgpr_workgroup_info 0
		.amdhsa_system_vgpr_workitem_id 0
		.amdhsa_next_free_vgpr 195
		.amdhsa_next_free_sgpr 44
		.amdhsa_reserve_vcc 1
		.amdhsa_reserve_flat_scratch 0
		.amdhsa_float_round_mode_32 0
		.amdhsa_float_round_mode_16_64 0
		.amdhsa_float_denorm_mode_32 3
		.amdhsa_float_denorm_mode_16_64 3
		.amdhsa_dx10_clamp 1
		.amdhsa_ieee_mode 1
		.amdhsa_fp16_overflow 0
		.amdhsa_exception_fp_ieee_invalid_op 0
		.amdhsa_exception_fp_denorm_src 0
		.amdhsa_exception_fp_ieee_div_zero 0
		.amdhsa_exception_fp_ieee_overflow 0
		.amdhsa_exception_fp_ieee_underflow 0
		.amdhsa_exception_fp_ieee_inexact 0
		.amdhsa_exception_int_div_zero 0
	.end_amdhsa_kernel
	.text
.Lfunc_end0:
	.size	fft_rtc_back_len936_factors_2_2_13_2_3_3_wgs_234_tpt_78_halfLds_dp_op_CI_CI_unitstride_sbrr_R2C_dirReg, .Lfunc_end0-fft_rtc_back_len936_factors_2_2_13_2_3_3_wgs_234_tpt_78_halfLds_dp_op_CI_CI_unitstride_sbrr_R2C_dirReg
                                        ; -- End function
	.section	.AMDGPU.csdata,"",@progbits
; Kernel info:
; codeLenInByte = 12584
; NumSgprs: 48
; NumVgprs: 195
; ScratchSize: 0
; MemoryBound: 0
; FloatMode: 240
; IeeeMode: 1
; LDSByteSize: 0 bytes/workgroup (compile time only)
; SGPRBlocks: 5
; VGPRBlocks: 48
; NumSGPRsForWavesPerEU: 48
; NumVGPRsForWavesPerEU: 195
; Occupancy: 1
; WaveLimiterHint : 1
; COMPUTE_PGM_RSRC2:SCRATCH_EN: 0
; COMPUTE_PGM_RSRC2:USER_SGPR: 6
; COMPUTE_PGM_RSRC2:TRAP_HANDLER: 0
; COMPUTE_PGM_RSRC2:TGID_X_EN: 1
; COMPUTE_PGM_RSRC2:TGID_Y_EN: 0
; COMPUTE_PGM_RSRC2:TGID_Z_EN: 0
; COMPUTE_PGM_RSRC2:TIDIG_COMP_CNT: 0
	.type	__hip_cuid_9039bc8ad50adeb9,@object ; @__hip_cuid_9039bc8ad50adeb9
	.section	.bss,"aw",@nobits
	.globl	__hip_cuid_9039bc8ad50adeb9
__hip_cuid_9039bc8ad50adeb9:
	.byte	0                               ; 0x0
	.size	__hip_cuid_9039bc8ad50adeb9, 1

	.ident	"AMD clang version 19.0.0git (https://github.com/RadeonOpenCompute/llvm-project roc-6.4.0 25133 c7fe45cf4b819c5991fe208aaa96edf142730f1d)"
	.section	".note.GNU-stack","",@progbits
	.addrsig
	.addrsig_sym __hip_cuid_9039bc8ad50adeb9
	.amdgpu_metadata
---
amdhsa.kernels:
  - .args:
      - .actual_access:  read_only
        .address_space:  global
        .offset:         0
        .size:           8
        .value_kind:     global_buffer
      - .offset:         8
        .size:           8
        .value_kind:     by_value
      - .actual_access:  read_only
        .address_space:  global
        .offset:         16
        .size:           8
        .value_kind:     global_buffer
      - .actual_access:  read_only
        .address_space:  global
        .offset:         24
        .size:           8
        .value_kind:     global_buffer
      - .actual_access:  read_only
        .address_space:  global
        .offset:         32
        .size:           8
        .value_kind:     global_buffer
      - .offset:         40
        .size:           8
        .value_kind:     by_value
      - .actual_access:  read_only
        .address_space:  global
        .offset:         48
        .size:           8
        .value_kind:     global_buffer
      - .actual_access:  read_only
        .address_space:  global
        .offset:         56
        .size:           8
        .value_kind:     global_buffer
      - .offset:         64
        .size:           4
        .value_kind:     by_value
      - .actual_access:  read_only
        .address_space:  global
        .offset:         72
        .size:           8
        .value_kind:     global_buffer
      - .actual_access:  read_only
        .address_space:  global
        .offset:         80
        .size:           8
        .value_kind:     global_buffer
      - .actual_access:  read_only
        .address_space:  global
        .offset:         88
        .size:           8
        .value_kind:     global_buffer
      - .actual_access:  write_only
        .address_space:  global
        .offset:         96
        .size:           8
        .value_kind:     global_buffer
    .group_segment_fixed_size: 0
    .kernarg_segment_align: 8
    .kernarg_segment_size: 104
    .language:       OpenCL C
    .language_version:
      - 2
      - 0
    .max_flat_workgroup_size: 234
    .name:           fft_rtc_back_len936_factors_2_2_13_2_3_3_wgs_234_tpt_78_halfLds_dp_op_CI_CI_unitstride_sbrr_R2C_dirReg
    .private_segment_fixed_size: 0
    .sgpr_count:     48
    .sgpr_spill_count: 0
    .symbol:         fft_rtc_back_len936_factors_2_2_13_2_3_3_wgs_234_tpt_78_halfLds_dp_op_CI_CI_unitstride_sbrr_R2C_dirReg.kd
    .uniform_work_group_size: 1
    .uses_dynamic_stack: false
    .vgpr_count:     195
    .vgpr_spill_count: 0
    .wavefront_size: 64
amdhsa.target:   amdgcn-amd-amdhsa--gfx906
amdhsa.version:
  - 1
  - 2
...

	.end_amdgpu_metadata
